;; amdgpu-corpus repo=ROCm/rocFFT kind=compiled arch=gfx1201 opt=O3
	.text
	.amdgcn_target "amdgcn-amd-amdhsa--gfx1201"
	.amdhsa_code_object_version 6
	.protected	bluestein_single_fwd_len945_dim1_half_op_CI_CI ; -- Begin function bluestein_single_fwd_len945_dim1_half_op_CI_CI
	.globl	bluestein_single_fwd_len945_dim1_half_op_CI_CI
	.p2align	8
	.type	bluestein_single_fwd_len945_dim1_half_op_CI_CI,@function
bluestein_single_fwd_len945_dim1_half_op_CI_CI: ; @bluestein_single_fwd_len945_dim1_half_op_CI_CI
; %bb.0:
	s_load_b128 s[16:19], s[0:1], 0x28
	v_mul_u32_u24_e32 v1, 0x411, v0
	s_mov_b32 s2, exec_lo
	v_mov_b32_e32 v25, 0
	s_delay_alu instid0(VALU_DEP_2) | instskip(NEXT) | instid1(VALU_DEP_1)
	v_lshrrev_b32_e32 v1, 16, v1
	v_add_nc_u32_e32 v24, ttmp9, v1
	s_wait_kmcnt 0x0
	s_delay_alu instid0(VALU_DEP_1)
	v_cmpx_gt_u64_e64 s[16:17], v[24:25]
	s_cbranch_execz .LBB0_10
; %bb.1:
	s_clause 0x1
	s_load_b128 s[4:7], s[0:1], 0x18
	s_load_b128 s[8:11], s[0:1], 0x0
	v_mul_lo_u16 v1, v1, 63
	s_movk_i32 s2, 0xf724
	s_mov_b32 s3, -1
	s_delay_alu instid0(VALU_DEP_1) | instskip(NEXT) | instid1(VALU_DEP_1)
	v_sub_nc_u16 v0, v0, v1
	v_and_b32_e32 v94, 0xffff, v0
	s_delay_alu instid0(VALU_DEP_1) | instskip(SKIP_3) | instid1(VALU_DEP_2)
	v_add_co_u32 v8, null, 0xfc, v94
	v_add_co_u32 v9, null, 0xbd, v94
	s_wait_kmcnt 0x0
	s_load_b128 s[12:15], s[4:5], 0x0
	v_mul_u32_u24_e32 v23, 3, v8
	v_and_b32_e32 v10, 0xffff, v8
	v_and_b32_e32 v13, 0xff, v9
	v_mul_u32_u24_e32 v22, 3, v9
	s_delay_alu instid0(VALU_DEP_4) | instskip(NEXT) | instid1(VALU_DEP_4)
	v_lshlrev_b32_e32 v106, 2, v23
	v_mul_u32_u24_e32 v35, 0xaaab, v10
	s_delay_alu instid0(VALU_DEP_4) | instskip(NEXT) | instid1(VALU_DEP_4)
	v_mul_lo_u16 v36, 0xab, v13
	v_lshlrev_b32_e32 v108, 2, v22
	v_mul_u32_u24_e32 v10, 0xe38f, v10
	v_mul_lo_u16 v13, v13, 57
	s_delay_alu instid0(VALU_DEP_4) | instskip(NEXT) | instid1(VALU_DEP_3)
	v_lshrrev_b16 v36, 9, v36
	v_lshrrev_b32_e32 v10, 19, v10
	s_delay_alu instid0(VALU_DEP_3) | instskip(NEXT) | instid1(VALU_DEP_3)
	v_lshrrev_b16 v13, 9, v13
	v_mul_lo_u16 v41, v36, 3
	v_and_b32_e32 v36, 0xffff, v36
	s_wait_kmcnt 0x0
	v_mad_co_u64_u32 v[1:2], null, s14, v24, 0
	v_mad_co_u64_u32 v[3:4], null, s12, v94, 0
	s_mul_u64 s[4:5], s[12:13], 0x4ec
	s_mul_u64 s[2:3], s[12:13], s[2:3]
	v_mul_u32_u24_e32 v36, 9, v36
	s_delay_alu instid0(VALU_DEP_2) | instskip(NEXT) | instid1(VALU_DEP_1)
	v_mad_co_u64_u32 v[5:6], null, s15, v24, v[2:3]
	v_dual_mov_b32 v2, v5 :: v_dual_lshlrev_b32 v73, 2, v94
	s_delay_alu instid0(VALU_DEP_4)
	v_mad_co_u64_u32 v[6:7], null, s13, v94, v[4:5]
	s_clause 0x5
	global_load_b32 v84, v73, s[8:9] offset:1764
	global_load_b32 v96, v73, s[8:9]
	global_load_b32 v92, v73, s[8:9] offset:252
	global_load_b32 v86, v73, s[8:9] offset:504
	;; [unrolled: 1-line block ×4, first 2 shown]
	v_lshlrev_b64_e32 v[1:2], 2, v[1:2]
	v_and_b32_e32 v5, 0xff, v0
	s_clause 0x8
	global_load_b32 v91, v73, s[8:9] offset:1512
	global_load_b32 v99, v73, s[8:9] offset:1260
	;; [unrolled: 1-line block ×9, first 2 shown]
	v_dual_mov_b32 v4, v6 :: v_dual_add_nc_u32 v17, 0x400, v73
	v_add_co_u32 v1, vcc_lo, s18, v1
	v_add_co_ci_u32_e32 v2, vcc_lo, s19, v2, vcc_lo
	s_delay_alu instid0(VALU_DEP_3)
	v_lshlrev_b64_e32 v[3:4], 2, v[3:4]
	v_mul_lo_u16 v6, 0xab, v5
	v_add_nc_u32_e32 v16, 0x800, v73
	v_add_nc_u32_e32 v19, 0x200, v73
	;; [unrolled: 1-line block ×3, first 2 shown]
	v_add_co_u32 v1, vcc_lo, v1, v3
	s_wait_alu 0xfffd
	v_add_co_ci_u32_e32 v2, vcc_lo, v2, v4, vcc_lo
	v_lshrrev_b16 v11, 9, v6
	global_load_b32 v37, v[1:2], off
	v_add_co_u32 v1, vcc_lo, v1, s4
	s_wait_alu 0xfffd
	v_add_co_ci_u32_e32 v2, vcc_lo, s5, v2, vcc_lo
	s_delay_alu instid0(VALU_DEP_2) | instskip(SKIP_1) | instid1(VALU_DEP_2)
	v_add_co_u32 v3, vcc_lo, v1, s4
	s_wait_alu 0xfffd
	v_add_co_ci_u32_e32 v4, vcc_lo, s5, v2, vcc_lo
	s_clause 0x1
	global_load_b32 v38, v[1:2], off
	global_load_b32 v34, v[3:4], off
	v_add_co_u32 v1, vcc_lo, v3, s2
	s_wait_alu 0xfffd
	v_add_co_ci_u32_e32 v2, vcc_lo, s3, v4, vcc_lo
	s_delay_alu instid0(VALU_DEP_2) | instskip(SKIP_1) | instid1(VALU_DEP_2)
	v_add_co_u32 v3, vcc_lo, v1, s4
	s_wait_alu 0xfffd
	v_add_co_ci_u32_e32 v4, vcc_lo, s5, v2, vcc_lo
	s_clause 0x1
	global_load_b32 v33, v[1:2], off
	global_load_b32 v32, v[3:4], off
	v_add_co_u32 v1, vcc_lo, v3, s4
	s_wait_alu 0xfffd
	v_add_co_ci_u32_e32 v2, vcc_lo, s5, v4, vcc_lo
	global_load_b32 v31, v[1:2], off
	v_add_co_u32 v1, vcc_lo, v1, s2
	s_wait_alu 0xfffd
	v_add_co_ci_u32_e32 v2, vcc_lo, s3, v2, vcc_lo
	s_delay_alu instid0(VALU_DEP_2) | instskip(SKIP_1) | instid1(VALU_DEP_2)
	v_add_co_u32 v3, vcc_lo, v1, s4
	s_wait_alu 0xfffd
	v_add_co_ci_u32_e32 v4, vcc_lo, s5, v2, vcc_lo
	global_load_b32 v30, v[1:2], off
	v_add_co_u32 v1, vcc_lo, v3, s4
	s_wait_alu 0xfffd
	v_add_co_ci_u32_e32 v2, vcc_lo, s5, v4, vcc_lo
	global_load_b32 v29, v[3:4], off
	;; [unrolled: 4-line block ×3, first 2 shown]
	global_load_b32 v27, v[3:4], off
	v_add_co_u32 v1, vcc_lo, v3, s4
	s_wait_alu 0xfffd
	v_add_co_ci_u32_e32 v2, vcc_lo, s5, v4, vcc_lo
	s_delay_alu instid0(VALU_DEP_2) | instskip(SKIP_1) | instid1(VALU_DEP_2)
	v_add_co_u32 v3, vcc_lo, v1, s4
	s_wait_alu 0xfffd
	v_add_co_ci_u32_e32 v4, vcc_lo, s5, v2, vcc_lo
	global_load_b32 v26, v[1:2], off
	v_add_co_u32 v1, vcc_lo, v3, s2
	s_wait_alu 0xfffd
	v_add_co_ci_u32_e32 v2, vcc_lo, s3, v4, vcc_lo
	global_load_b32 v25, v[3:4], off
	;; [unrolled: 4-line block ×4, first 2 shown]
	global_load_b32 v15, v[1:2], off
	s_load_b128 s[4:7], s[6:7], 0x0
	v_add_co_u32 v1, null, 0x7e, v94
	v_mul_lo_u16 v2, v0, 3
	v_add_nc_u32_e32 v3, 0x600, v73
	v_add_co_u32 v4, null, v94, 63
	s_delay_alu instid0(VALU_DEP_4) | instskip(SKIP_2) | instid1(VALU_DEP_4)
	v_mul_u32_u24_e32 v20, 3, v1
	v_and_b32_e32 v7, 0xff, v1
	v_and_b32_e32 v2, 0xffff, v2
	v_mul_u32_u24_e32 v12, 3, v4
	v_and_b32_e32 v6, 0xff, v4
	v_lshlrev_b32_e32 v107, 2, v20
	v_mul_lo_u16 v20, v11, 3
	v_mul_lo_u16 v23, 0xab, v7
	v_lshlrev_b32_e32 v105, 2, v2
	v_add_nc_u32_e32 v2, 0xa00, v73
	v_lshlrev_b32_e32 v109, 2, v12
	v_sub_nc_u16 v39, v0, v20
	v_lshrrev_b16 v20, 9, v23
	v_mul_lo_u16 v22, 0xab, v6
	v_lshrrev_b32_e32 v12, 17, v35
	v_and_b32_e32 v11, 0xffff, v11
	v_and_b32_e32 v23, 0xff, v39
	v_mul_lo_u16 v40, v20, 3
	v_lshrrev_b16 v35, 9, v22
	v_mul_lo_u16 v22, v12, 3
	v_mul_u32_u24_e32 v11, 9, v11
	v_lshlrev_b32_e32 v42, 3, v23
	v_sub_nc_u16 v40, v1, v40
	v_mul_lo_u16 v39, v35, 3
	v_sub_nc_u16 v22, v8, v22
	v_and_b32_e32 v35, 0xffff, v35
	v_add_lshl_u32 v110, v11, v23, 2
	v_cmp_gt_u16_e32 vcc_lo, 9, v0
	v_sub_nc_u16 v39, v4, v39
	s_delay_alu instid0(VALU_DEP_4)
	v_mul_u32_u24_e32 v23, 9, v35
	s_wait_loadcnt 0x1c
	v_lshrrev_b32_e32 v104, 16, v96
	s_wait_loadcnt 0x1b
	v_lshrrev_b32_e32 v101, 16, v92
	;; [unrolled: 2-line block ×5, first 2 shown]
	v_lshrrev_b32_e32 v100, 16, v91
	v_lshrrev_b32_e32 v103, 16, v99
	;; [unrolled: 1-line block ×3, first 2 shown]
	s_wait_loadcnt 0x12
	v_lshrrev_b32_e32 v90, 16, v83
	v_lshrrev_b32_e32 v88, 16, v81
	;; [unrolled: 1-line block ×3, first 2 shown]
	s_wait_loadcnt 0x11
	v_lshrrev_b32_e32 v85, 16, v77
	v_lshrrev_b32_e32 v82, 16, v76
	s_wait_loadcnt 0xf
	v_lshrrev_b32_e32 v80, 16, v75
	v_lshrrev_b32_e32 v79, 16, v74
	s_wait_loadcnt 0xe
	v_lshrrev_b32_e32 v43, 16, v37
	v_mul_f16_e32 v44, v104, v37
	s_delay_alu instid0(VALU_DEP_2) | instskip(NEXT) | instid1(VALU_DEP_2)
	v_mul_f16_e32 v45, v104, v43
	v_fma_f16 v43, v96, v43, -v44
	s_wait_loadcnt 0xd
	v_lshrrev_b32_e32 v46, 16, v38
	v_mul_f16_e32 v47, v103, v38
	v_fmac_f16_e32 v45, v96, v37
	s_wait_loadcnt 0xc
	v_lshrrev_b32_e32 v44, 16, v34
	v_mul_f16_e32 v37, v103, v46
	v_fma_f16 v46, v99, v46, -v47
	v_mul_f16_e32 v47, v102, v34
	v_pack_b32_f16 v43, v45, v43
	s_delay_alu instid0(VALU_DEP_4) | instskip(SKIP_1) | instid1(VALU_DEP_4)
	v_fmac_f16_e32 v37, v99, v38
	v_mul_f16_e32 v38, v102, v44
	v_fma_f16 v44, v98, v44, -v47
	s_wait_loadcnt 0xb
	v_lshrrev_b32_e32 v45, 16, v33
	v_mul_f16_e32 v47, v101, v33
	v_pack_b32_f16 v37, v37, v46
	v_fmac_f16_e32 v38, v98, v34
	s_wait_loadcnt 0xa
	v_lshrrev_b32_e32 v46, 16, v32
	v_mul_f16_e32 v34, v101, v45
	v_mul_f16_e32 v48, v100, v32
	v_fma_f16 v45, v92, v45, -v47
	v_pack_b32_f16 v38, v38, v44
	s_wait_loadcnt 0x9
	v_mul_f16_e32 v47, v97, v31
	v_fmac_f16_e32 v34, v92, v33
	v_mul_f16_e32 v33, v100, v46
	v_fma_f16 v44, v91, v46, -v48
	v_lshrrev_b32_e32 v46, 16, v31
	ds_store_b32 v73, v37 offset:1260
	ds_store_b32 v73, v38 offset:2520
	v_pack_b32_f16 v34, v34, v45
	v_fmac_f16_e32 v33, v91, v32
	v_mul_f16_e32 v32, v97, v46
	s_wait_loadcnt 0x8
	v_lshrrev_b32_e32 v38, 16, v30
	v_fma_f16 v37, v89, v46, -v47
	v_mul_f16_e32 v45, v95, v30
	ds_store_2addr_b32 v73, v43, v34 offset1:63
	v_fmac_f16_e32 v32, v89, v31
	v_mul_f16_e32 v31, v95, v38
	s_wait_loadcnt 0x7
	v_lshrrev_b32_e32 v34, 16, v29
	v_fma_f16 v38, v86, v38, -v45
	v_mul_f16_e32 v43, v93, v29
	v_pack_b32_f16 v32, v32, v37
	v_fmac_f16_e32 v31, v86, v30
	v_mul_f16_e32 v30, v93, v34
	s_wait_loadcnt 0x6
	v_lshrrev_b32_e32 v37, 16, v28
	v_pack_b32_f16 v33, v33, v44
	v_fma_f16 v34, v84, v34, -v43
	v_pack_b32_f16 v31, v31, v38
	v_fmac_f16_e32 v30, v84, v29
	v_mul_f16_e32 v29, v90, v37
	s_wait_loadcnt 0x5
	v_lshrrev_b32_e32 v38, 16, v27
	v_mul_f16_e32 v44, v88, v27
	v_mul_f16_e32 v43, v90, v28
	v_pack_b32_f16 v30, v30, v34
	v_fmac_f16_e32 v29, v83, v28
	v_mul_f16_e32 v28, v88, v38
	v_fma_f16 v34, v81, v38, -v44
	s_wait_loadcnt 0x4
	v_lshrrev_b32_e32 v38, 16, v26
	v_fma_f16 v37, v83, v37, -v43
	ds_store_2addr_b32 v17, v33, v30 offset0:122 offset1:185
	v_fmac_f16_e32 v28, v81, v27
	s_wait_loadcnt 0x3
	v_lshrrev_b32_e32 v27, 16, v25
	v_mul_f16_e32 v30, v87, v38
	v_pack_b32_f16 v29, v29, v37
	v_mul_f16_e32 v37, v85, v25
	v_pack_b32_f16 v28, v28, v34
	v_mul_f16_e32 v34, v85, v27
	v_mul_f16_e32 v43, v87, v26
	v_fmac_f16_e32 v30, v78, v26
	s_wait_loadcnt 0x2
	v_lshrrev_b32_e32 v26, 16, v14
	v_fma_f16 v27, v77, v27, -v37
	v_mul_f16_e32 v37, v82, v14
	v_fmac_f16_e32 v34, v77, v25
	s_wait_loadcnt 0x1
	v_lshrrev_b32_e32 v25, 16, v21
	v_fma_f16 v33, v78, v38, -v43
	s_wait_loadcnt 0x0
	v_lshrrev_b32_e32 v43, 16, v15
	v_mul_f16_e32 v38, v82, v26
	v_fma_f16 v26, v76, v26, -v37
	v_mul_f16_e32 v37, v80, v21
	v_mul_f16_e32 v44, v80, v25
	;; [unrolled: 1-line block ×4, first 2 shown]
	v_fmac_f16_e32 v38, v76, v14
	v_fma_f16 v14, v75, v25, -v37
	v_fmac_f16_e32 v44, v75, v21
	v_fma_f16 v21, v74, v43, -v45
	v_fmac_f16_e32 v46, v74, v15
	v_pack_b32_f16 v26, v38, v26
	v_pack_b32_f16 v15, v30, v33
	;; [unrolled: 1-line block ×5, first 2 shown]
	ds_store_2addr_b32 v16, v32, v29 offset0:181 offset1:244
	ds_store_2addr_b32 v73, v31, v28 offset0:126 offset1:189
	ds_store_b32 v73, v26 offset:1008
	ds_store_2addr_b32 v3, v15, v14 offset0:120 offset1:183
	ds_store_2addr_b32 v18, v25, v21 offset0:51 offset1:114
	global_wb scope:SCOPE_SE
	s_wait_dscnt 0x0
	s_wait_kmcnt 0x0
	s_barrier_signal -1
	s_barrier_wait -1
	global_inv scope:SCOPE_SE
	ds_load_2addr_b32 v[14:15], v73 offset1:63
	ds_load_2addr_b32 v[25:26], v17 offset0:122 offset1:185
	ds_load_2addr_b32 v[27:28], v16 offset0:118 offset1:181
	v_sub_nc_u16 v21, v9, v41
	ds_load_2addr_b32 v[29:30], v73 offset0:126 offset1:189
	ds_load_2addr_b32 v[31:32], v2 offset0:116 offset1:179
	ds_load_2addr_b32 v[33:34], v3 offset0:120 offset1:183
	v_and_b32_e32 v38, 0xff, v40
	ds_load_2addr_b32 v[40:41], v19 offset0:124 offset1:187
	ds_load_b32 v44, v73 offset:3528
	v_lshlrev_b16 v43, 1, v22
	v_and_b32_e32 v37, 0xff, v39
	v_and_b32_e32 v39, 0xff, v21
	v_lshlrev_b32_e32 v45, 3, v38
	global_wb scope:SCOPE_SE
	s_wait_dscnt 0x0
	v_and_b32_e32 v43, 0xffff, v43
	v_lshlrev_b32_e32 v21, 3, v37
	s_barrier_signal -1
	s_barrier_wait -1
	global_inv scope:SCOPE_SE
	v_lshlrev_b32_e32 v43, 2, v43
	v_mad_u16 v22, v12, 9, v22
	v_pk_add_f16 v46, v15, v25
	v_pk_add_f16 v47, v25, v28
	v_pk_add_f16 v25, v25, v28 neg_lo:[0,1] neg_hi:[0,1]
	v_pk_add_f16 v48, v29, v26
	v_pk_add_f16 v49, v26, v31
	v_pk_add_f16 v26, v26, v31 neg_lo:[0,1] neg_hi:[0,1]
	v_pk_add_f16 v50, v30, v33
	v_pk_add_f16 v51, v33, v32
	v_pk_add_f16 v33, v33, v32 neg_lo:[0,1] neg_hi:[0,1]
	v_pk_add_f16 v53, v14, v41
	v_pk_add_f16 v54, v41, v27
	v_pk_add_f16 v41, v41, v27 neg_lo:[0,1] neg_hi:[0,1]
	v_pk_add_f16 v52, v40, v34
	v_pk_add_f16 v55, v34, v44
	v_pk_add_f16 v34, v34, v44 neg_lo:[0,1] neg_hi:[0,1]
	v_pk_fma_f16 v15, v47, 0.5, v15 op_sel_hi:[1,0,1] neg_lo:[1,0,0] neg_hi:[1,0,0]
	v_pk_mul_f16 v25, 0x3aee, v25 op_sel_hi:[0,1]
	v_pk_fma_f16 v29, v49, 0.5, v29 op_sel_hi:[1,0,1] neg_lo:[1,0,0] neg_hi:[1,0,0]
	v_pk_mul_f16 v26, 0x3aee, v26 op_sel_hi:[0,1]
	;; [unrolled: 2-line block ×4, first 2 shown]
	v_pk_add_f16 v28, v46, v28
	v_pk_fma_f16 v40, v55, 0.5, v40 op_sel_hi:[1,0,1] neg_lo:[1,0,0] neg_hi:[1,0,0]
	v_pk_mul_f16 v34, 0x3aee, v34 op_sel_hi:[0,1]
	v_pk_add_f16 v46, v15, v25 op_sel:[0,1] op_sel_hi:[1,0]
	v_pk_add_f16 v15, v15, v25 op_sel:[0,1] op_sel_hi:[1,0] neg_lo:[0,1] neg_hi:[0,1]
	v_pk_add_f16 v25, v29, v26 op_sel:[0,1] op_sel_hi:[1,0]
	v_pk_add_f16 v26, v29, v26 op_sel:[0,1] op_sel_hi:[1,0] neg_lo:[0,1] neg_hi:[0,1]
	;; [unrolled: 2-line block ×4, first 2 shown]
	v_pk_add_f16 v27, v53, v27
	v_pk_add_f16 v41, v40, v34 op_sel:[0,1] op_sel_hi:[1,0]
	v_pk_add_f16 v34, v40, v34 op_sel:[0,1] op_sel_hi:[1,0] neg_lo:[0,1] neg_hi:[0,1]
	v_bfi_b32 v40, 0xffff, v46, v15
	v_bfi_b32 v47, 0xffff, v33, v14
	;; [unrolled: 1-line block ×4, first 2 shown]
	v_pk_add_f16 v31, v48, v31
	v_bfi_b32 v46, 0xffff, v25, v26
	v_bfi_b32 v25, 0xffff, v26, v25
	;; [unrolled: 1-line block ×3, first 2 shown]
	v_pk_add_f16 v32, v50, v32
	v_pk_add_f16 v44, v52, v44
	v_bfi_b32 v29, 0xffff, v30, v29
	v_bfi_b32 v30, 0xffff, v41, v34
	v_bfi_b32 v33, 0xffff, v34, v41
	ds_store_2addr_b32 v105, v27, v47 offset1:1
	ds_store_b32 v105, v14 offset:8
	ds_store_2addr_b32 v109, v28, v40 offset1:1
	ds_store_b32 v109, v15 offset:8
	;; [unrolled: 2-line block ×5, first 2 shown]
	global_wb scope:SCOPE_SE
	s_wait_dscnt 0x0
	s_barrier_signal -1
	s_barrier_wait -1
	global_inv scope:SCOPE_SE
	global_load_b64 v[25:26], v43, s[10:11]
	v_lshlrev_b32_e32 v14, 3, v39
	s_clause 0x3
	global_load_b64 v[33:34], v42, s[10:11]
	global_load_b64 v[31:32], v21, s[10:11]
	;; [unrolled: 1-line block ×4, first 2 shown]
	v_mul_lo_u16 v14, v5, 57
	v_mul_lo_u16 v15, v6, 57
	;; [unrolled: 1-line block ×3, first 2 shown]
	v_and_b32_e32 v42, 0xffff, v20
	v_mul_lo_u16 v43, v13, 9
	v_lshrrev_b16 v21, 9, v14
	v_add_lshl_u32 v113, v23, v37, 2
	v_add_lshl_u32 v111, v36, v39, 2
	v_mul_u32_u24_e32 v35, 9, v42
	v_sub_nc_u16 v9, v9, v43
	v_mul_lo_u16 v14, v21, 9
	v_and_b32_e32 v43, 0xffff, v22
	v_mul_lo_u16 v5, v5, 19
	v_add_lshl_u32 v112, v35, v38, 2
	ds_load_2addr_b32 v[22:23], v3 offset0:120 offset1:183
	ds_load_b32 v50, v73 offset:3528
	ds_load_2addr_b32 v[35:36], v19 offset0:124 offset1:187
	v_sub_nc_u16 v41, v0, v14
	v_lshrrev_b16 v14, 9, v15
	v_lshrrev_b16 v15, 9, v40
	v_mul_lo_u16 v40, v10, 9
	ds_load_2addr_b32 v[37:38], v16 offset0:118 offset1:181
	v_and_b32_e32 v20, 0xff, v41
	v_mul_lo_u16 v44, v14, 9
	v_mul_lo_u16 v45, v15, 9
	v_sub_nc_u16 v8, v8, v40
	v_lshlrev_b32_e32 v114, 2, v43
	v_and_b32_e32 v9, 0xff, v9
	v_sub_nc_u16 v11, v4, v44
	v_sub_nc_u16 v40, v1, v45
	v_lshlrev_b16 v41, 3, v8
	v_lshlrev_b32_e32 v49, 3, v20
	v_mul_lo_u16 v7, v7, 19
	v_and_b32_e32 v11, 0xff, v11
	v_and_b32_e32 v12, 0xff, v40
	;; [unrolled: 1-line block ×3, first 2 shown]
	ds_load_2addr_b32 v[39:40], v17 offset0:122 offset1:185
	ds_load_2addr_b32 v[41:42], v73 offset1:63
	ds_load_2addr_b32 v[43:44], v73 offset0:126 offset1:189
	ds_load_2addr_b32 v[45:46], v2 offset0:116 offset1:179
	s_wait_dscnt 0x7
	v_lshrrev_b32_e32 v53, 16, v23
	s_wait_dscnt 0x6
	v_lshrrev_b32_e32 v54, 16, v50
	;; [unrolled: 2-line block ×4, first 2 shown]
	v_lshrrev_b32_e32 v58, 16, v38
	v_lshrrev_b32_e32 v63, 16, v22
	;; [unrolled: 1-line block ×3, first 2 shown]
	v_add_co_u32 v47, s2, s10, v47
	s_wait_alu 0xf1ff
	v_add_co_ci_u32_e64 v48, null, s11, 0, s2
	v_lshlrev_b32_e32 v51, 3, v11
	v_lshlrev_b32_e32 v52, 3, v12
	global_wb scope:SCOPE_SE
	s_wait_loadcnt_dscnt 0x0
	s_barrier_signal -1
	s_barrier_wait -1
	global_inv scope:SCOPE_SE
	v_lshrrev_b32_e32 v59, 16, v39
	v_lshrrev_b32_e32 v62, 16, v40
	;; [unrolled: 1-line block ×8, first 2 shown]
	v_mul_lo_u16 v6, v6, 19
	v_and_b32_e32 v13, 0xffff, v13
	v_mad_u16 v8, v10, 27, v8
	s_load_b64 s[2:3], s[0:1], 0x38
	v_lshrrev_b32_e32 v124, 16, v33
	v_lshrrev_b32_e32 v116, 16, v25
	;; [unrolled: 1-line block ×10, first 2 shown]
	v_mul_f16_e32 v68, v53, v116
	v_mul_f16_e32 v69, v54, v115
	;; [unrolled: 1-line block ×7, first 2 shown]
	v_mul_f16_e64 v128, v38, v119
	v_mul_f16_e64 v129, v37, v122
	;; [unrolled: 1-line block ×3, first 2 shown]
	v_mul_f16_e32 v127, v58, v119
	v_mul_f16_e64 v131, v59, v123
	v_mul_f16_e64 v132, v62, v120
	;; [unrolled: 1-line block ×9, first 2 shown]
	v_fma_f16 v23, v23, v25, -v68
	v_fma_f16 v50, v50, v26, -v69
	v_fmac_f16_e32 v70, v53, v25
	v_fmac_f16_e32 v71, v54, v26
	v_fma_f16 v36, v36, v33, -v72
	v_fma_f16 v37, v37, v34, -v126
	v_fmac_f16_e64 v128, v58, v32
	v_fmac_f16_e64 v130, v59, v31
	v_fmac_f16_e32 v125, v55, v33
	v_fmac_f16_e64 v129, v57, v34
	v_fma_f16 v38, v38, v32, -v127
	v_fma_f16 v39, v39, v31, -v131
	;; [unrolled: 1-line block ×4, first 2 shown]
	v_fmac_f16_e64 v133, v62, v29
	v_fmac_f16_e64 v138, v64, v30
	;; [unrolled: 1-line block ×4, first 2 shown]
	v_fma_f16 v22, v22, v27, -v134
	v_fma_f16 v46, v46, v28, -v137
	v_add_f16_e32 v53, v23, v50
	v_add_f16_e32 v55, v70, v71
	v_sub_f16_e32 v57, v70, v71
	v_add_f16_e32 v58, v56, v70
	v_add_f16_e64 v63, v130, v128
	v_add_f16_e32 v68, v36, v37
	v_add_f16_e32 v69, v41, v36
	v_add_f16_e32 v70, v61, v125
	v_add_f16_e64 v72, v125, v129
	v_add_f16_e32 v59, v39, v38
	v_add_f16_e32 v62, v42, v39
	v_add_f16_e64 v64, v60, v130
	v_sub_f16_e64 v65, v130, v128
	v_add_f16_e64 v130, v135, v139
	v_add_f16_e64 v134, v40, v45
	;; [unrolled: 1-line block ×3, first 2 shown]
	v_add_f16_e32 v54, v35, v23
	v_sub_f16_e32 v39, v39, v38
	v_sub_f16_e32 v36, v36, v37
	v_sub_f16_e64 v125, v125, v129
	v_add_f16_e32 v126, v22, v46
	v_fmac_f16_e32 v35, -0.5, v53
	v_fmac_f16_e32 v60, -0.5, v63
	v_fma_f16 v41, -0.5, v68, v41
	v_add_f16_e32 v37, v69, v37
	v_add_f16_e64 v53, v70, v129
	v_fmac_f16_e32 v61, -0.5, v72
	v_sub_f16_e32 v23, v23, v50
	v_fmac_f16_e32 v56, -0.5, v55
	v_fmac_f16_e32 v42, -0.5, v59
	v_add_f16_e32 v127, v44, v22
	v_add_f16_e64 v131, v66, v135
	v_sub_f16_e64 v132, v135, v139
	v_sub_f16_e32 v22, v22, v46
	v_add_f16_e64 v135, v43, v40
	v_sub_f16_e32 v40, v40, v45
	v_add_f16_e64 v136, v67, v133
	v_sub_f16_e64 v133, v133, v138
	v_add_f16_e32 v38, v62, v38
	v_add_f16_e64 v55, v64, v128
	v_fmac_f16_e64 v66, -0.5, v130
	v_fma_f16 v43, -0.5, v134, v43
	v_fmac_f16_e64 v67, -0.5, v137
	v_fmac_f16_e32 v44, -0.5, v126
	v_fmamk_f16 v63, v39, 0xbaee, v60
	v_fmac_f16_e32 v60, 0x3aee, v39
	v_pack_b32_f16 v37, v37, v53
	v_fmamk_f16 v39, v125, 0x3aee, v41
	v_fmamk_f16 v53, v36, 0xbaee, v61
	v_fmac_f16_e32 v41, 0xbaee, v125
	v_fmac_f16_e32 v61, 0x3aee, v36
	v_add_f16_e32 v50, v54, v50
	v_add_f16_e32 v54, v58, v71
	v_fmamk_f16 v58, v57, 0x3aee, v35
	v_fmac_f16_e32 v35, 0xbaee, v57
	v_fmamk_f16 v57, v23, 0xbaee, v56
	v_fmac_f16_e32 v56, 0x3aee, v23
	;; [unrolled: 2-line block ×3, first 2 shown]
	v_add_f16_e64 v45, v135, v45
	v_add_f16_e64 v59, v136, v138
	v_pack_b32_f16 v36, v38, v55
	v_fmamk_f16 v55, v22, 0xbaee, v66
	v_fmac_f16_e32 v66, 0x3aee, v22
	v_fma_f16 v22, 0x3aee, v133, v43
	v_fmamk_f16 v64, v40, 0xbaee, v67
	v_add_f16_e32 v46, v127, v46
	v_add_f16_e64 v62, v131, v139
	v_fma_f16 v38, 0x3aee, v132, v44
	v_fmac_f16_e64 v44, 0xbaee, v132
	v_fmac_f16_e64 v43, 0xbaee, v133
	v_fmac_f16_e32 v67, 0x3aee, v40
	v_pack_b32_f16 v39, v39, v53
	v_pack_b32_f16 v41, v41, v61
	;; [unrolled: 1-line block ×13, first 2 shown]
	ds_store_2addr_b32 v110, v37, v39 offset1:3
	ds_store_b32 v110, v41 offset:24
	ds_store_2addr_b32 v113, v36, v23 offset1:3
	ds_store_b32 v113, v42 offset:24
	;; [unrolled: 2-line block ×5, first 2 shown]
	global_wb scope:SCOPE_SE
	s_wait_dscnt 0x0
	s_wait_kmcnt 0x0
	s_barrier_signal -1
	s_barrier_wait -1
	global_inv scope:SCOPE_SE
	global_load_b64 v[35:36], v[47:48], off offset:24
	v_lshlrev_b32_e32 v22, 3, v9
	s_clause 0x3
	global_load_b64 v[43:44], v49, s[10:11] offset:24
	global_load_b64 v[41:42], v51, s[10:11] offset:24
	;; [unrolled: 1-line block ×4, first 2 shown]
	v_lshrrev_b16 v45, 9, v5
	v_mul_lo_u16 v5, v21, 27
	v_lshrrev_b16 v49, 9, v7
	v_lshrrev_b16 v46, 9, v6
	v_and_b32_e32 v7, 0xffff, v14
	v_mul_lo_u16 v21, v45, 27
	v_and_b32_e32 v5, 0xff, v5
	v_and_b32_e32 v14, 0xffff, v15
	v_mul_lo_u16 v15, v46, 27
	v_mul_u32_u24_e32 v50, 27, v13
	v_sub_nc_u16 v6, v0, v21
	v_mul_lo_u16 v21, v49, 27
	v_mul_u32_u24_e32 v47, 27, v7
	v_add_lshl_u32 v128, v5, v20, 2
	v_mul_u32_u24_e32 v48, 27, v14
	v_and_b32_e32 v53, 0xff, v6
	v_sub_nc_u16 v13, v1, v21
	v_sub_nc_u16 v15, v4, v15
	ds_load_b32 v52, v73 offset:3528
	ds_load_2addr_b32 v[4:5], v3 offset0:120 offset1:183
	ds_load_2addr_b32 v[6:7], v19 offset0:124 offset1:187
	v_add_lshl_u32 v132, v47, v11, 2
	v_add_lshl_u32 v129, v48, v12, 2
	v_and_b32_e32 v55, 0xff, v13
	ds_load_2addr_b32 v[13:14], v16 offset0:118 offset1:181
	ds_load_2addr_b32 v[20:21], v17 offset0:122 offset1:185
	ds_load_2addr_b32 v[22:23], v73 offset1:63
	ds_load_2addr_b32 v[10:11], v2 offset0:116 offset1:179
	v_and_b32_e32 v12, 0xffff, v8
	v_add_lshl_u32 v130, v50, v9, 2
	ds_load_2addr_b32 v[8:9], v73 offset0:126 offset1:189
	v_and_b32_e32 v56, 0xff, v15
	v_lshlrev_b32_e32 v51, 4, v53
	v_lshlrev_b32_e32 v131, 2, v12
	;; [unrolled: 1-line block ×3, first 2 shown]
	global_wb scope:SCOPE_SE
	s_wait_loadcnt_dscnt 0x0
	s_barrier_signal -1
	s_barrier_wait -1
	global_inv scope:SCOPE_SE
	v_lshrrev_b32_e32 v12, 16, v52
	v_lshrrev_b32_e32 v47, 16, v5
	;; [unrolled: 1-line block ×25, first 2 shown]
	v_mul_f16_e64 v67, v12, v133
	v_mul_f16_e64 v68, v52, v133
	;; [unrolled: 1-line block ×20, first 2 shown]
	v_fma_f16 v52, v52, v36, -v67
	v_fmac_f16_e32 v68, v12, v36
	v_fmac_f16_e32 v69, v47, v35
	v_fma_f16 v5, v5, v35, -v70
	v_fma_f16 v7, v7, v43, -v71
	;; [unrolled: 1-line block ×3, first 2 shown]
	v_fmac_f16_e32 v127, v57, v42
	v_fmac_f16_e64 v144, v58, v41
	v_fmac_f16_e32 v72, v50, v43
	v_fmac_f16_e64 v143, v54, v44
	v_fma_f16 v13, v14, v42, -v126
	v_fma_f16 v14, v20, v41, -v145
	;; [unrolled: 1-line block ×4, first 2 shown]
	v_fmac_f16_e64 v149, v62, v37
	v_fmac_f16_e64 v152, v64, v38
	;; [unrolled: 1-line block ×4, first 2 shown]
	v_fma_f16 v4, v4, v37, -v148
	v_fma_f16 v11, v11, v38, -v151
	v_add_f16_e32 v21, v5, v52
	v_add_f16_e32 v50, v69, v68
	;; [unrolled: 1-line block ×3, first 2 shown]
	v_sub_f16_e32 v57, v69, v68
	v_add_f16_e64 v62, v144, v127
	v_add_f16_e32 v67, v7, v12
	v_add_f16_e32 v69, v22, v7
	;; [unrolled: 1-line block ×3, first 2 shown]
	v_add_f16_e64 v71, v72, v143
	v_add_f16_e32 v58, v14, v13
	v_add_f16_e32 v61, v23, v14
	v_add_f16_e64 v63, v59, v144
	v_sub_f16_e64 v64, v144, v127
	v_add_f16_e64 v144, v149, v152
	v_add_f16_e64 v145, v65, v149
	v_sub_f16_e64 v146, v149, v152
	v_add_f16_e64 v148, v20, v10
	v_add_f16_e64 v149, v8, v20
	;; [unrolled: 1-line block ×4, first 2 shown]
	v_add_f16_e32 v47, v6, v5
	v_sub_f16_e32 v14, v14, v13
	v_sub_f16_e32 v7, v7, v12
	v_sub_f16_e64 v72, v72, v143
	v_add_f16_e32 v125, v4, v11
	v_fmac_f16_e32 v6, -0.5, v21
	v_fmac_f16_e32 v59, -0.5, v62
	v_fma_f16 v21, -0.5, v67, v22
	v_add_f16_e32 v12, v69, v12
	v_add_f16_e64 v22, v70, v143
	v_fmac_f16_e32 v60, -0.5, v71
	v_sub_f16_e32 v5, v5, v52
	v_fmac_f16_e32 v48, -0.5, v50
	v_fmac_f16_e32 v23, -0.5, v58
	v_add_f16_e32 v126, v9, v4
	v_sub_f16_e32 v4, v4, v11
	v_sub_f16_e32 v20, v20, v10
	v_sub_f16_e64 v147, v147, v153
	v_add_f16_e32 v13, v61, v13
	v_add_f16_e32 v50, v63, v127
	v_fmac_f16_e64 v65, -0.5, v144
	v_fma_f16 v8, -0.5, v148, v8
	v_add_f16_e64 v10, v149, v10
	v_add_f16_e64 v58, v150, v153
	v_fmac_f16_e64 v66, -0.5, v151
	v_fmac_f16_e32 v9, -0.5, v125
	v_fmamk_f16 v62, v14, 0xbaee, v59
	v_fmac_f16_e32 v59, 0x3aee, v14
	v_pack_b32_f16 v12, v12, v22
	v_fmamk_f16 v14, v72, 0x3aee, v21
	v_fmamk_f16 v22, v7, 0xbaee, v60
	v_fmac_f16_e32 v21, 0xbaee, v72
	v_fmac_f16_e32 v60, 0x3aee, v7
	v_add_f16_e32 v47, v47, v52
	v_add_f16_e32 v52, v54, v68
	v_fmamk_f16 v54, v57, 0x3aee, v6
	v_fmac_f16_e32 v6, 0xbaee, v57
	v_fmamk_f16 v57, v5, 0xbaee, v48
	v_fmac_f16_e32 v48, 0x3aee, v5
	;; [unrolled: 2-line block ×3, first 2 shown]
	v_pack_b32_f16 v7, v13, v50
	v_fmamk_f16 v50, v4, 0xbaee, v65
	v_fmac_f16_e32 v65, 0x3aee, v4
	v_pack_b32_f16 v4, v10, v58
	v_fma_f16 v10, 0x3aee, v147, v8
	v_fmamk_f16 v58, v20, 0xbaee, v66
	v_fmac_f16_e64 v8, 0xbaee, v147
	v_fmac_f16_e32 v66, 0x3aee, v20
	v_add_f16_e32 v11, v126, v11
	v_add_f16_e64 v61, v145, v152
	v_fma_f16 v13, 0x3aee, v146, v9
	v_fmac_f16_e64 v9, 0xbaee, v146
	v_pack_b32_f16 v14, v14, v22
	v_pack_b32_f16 v21, v21, v60
	v_pack_b32_f16 v5, v5, v62
	v_pack_b32_f16 v23, v23, v59
	v_pack_b32_f16 v10, v10, v58
	v_pack_b32_f16 v8, v8, v66
	v_pack_b32_f16 v11, v11, v61
	v_pack_b32_f16 v20, v47, v52
	v_pack_b32_f16 v6, v6, v48
	v_pack_b32_f16 v9, v9, v65
	v_pack_b32_f16 v13, v13, v50
	v_pack_b32_f16 v22, v54, v57
	ds_store_2addr_b32 v128, v12, v14 offset1:9
	ds_store_b32 v128, v21 offset:72
	ds_store_2addr_b32 v132, v7, v5 offset1:9
	ds_store_b32 v132, v23 offset:72
	;; [unrolled: 2-line block ×5, first 2 shown]
	v_lshlrev_b32_e32 v8, 4, v56
	global_wb scope:SCOPE_SE
	s_wait_dscnt 0x0
	s_barrier_signal -1
	s_barrier_wait -1
	global_inv scope:SCOPE_SE
	s_clause 0x2
	global_load_b128 v[4:7], v15, s[10:11] offset:96
	global_load_b128 v[12:15], v51, s[10:11] offset:96
	global_load_b128 v[8:11], v8, s[10:11] offset:96
	v_and_b32_e32 v50, 0xffff, v45
	v_and_b32_e32 v51, 0xffff, v46
	ds_load_b32 v57, v73 offset:3528
	ds_load_2addr_b32 v[20:21], v3 offset0:120 offset1:183
	ds_load_2addr_b32 v[22:23], v16 offset0:118 offset1:181
	;; [unrolled: 1-line block ×4, first 2 shown]
	v_and_b32_e32 v19, 0xffff, v49
	v_mul_u32_u24_e32 v54, 0x87, v50
	ds_load_2addr_b32 v[49:50], v17 offset0:122 offset1:185
	v_mul_u32_u24_e32 v58, 0x87, v51
	ds_load_2addr_b32 v[51:52], v2 offset0:116 offset1:179
	v_mul_u32_u24_e32 v19, 0x87, v19
	v_add_lshl_u32 v127, v54, v53, 2
	ds_load_2addr_b32 v[53:54], v73 offset1:63
	v_add_lshl_u32 v126, v58, v56, 2
	global_wb scope:SCOPE_SE
	s_wait_loadcnt_dscnt 0x0
	v_add_lshl_u32 v125, v19, v55, 2
	s_barrier_signal -1
	s_barrier_wait -1
	global_inv scope:SCOPE_SE
	v_lshrrev_b32_e32 v19, 16, v57
	v_lshrrev_b32_e32 v55, 16, v20
	;; [unrolled: 1-line block ×27, first 2 shown]
	v_mul_f16_e64 v70, v19, v146
	v_mul_f16_e64 v71, v57, v146
	;; [unrolled: 1-line block ×24, first 2 shown]
	v_fma_f16 v57, v57, v7, -v70
	v_fmac_f16_e32 v71, v19, v7
	v_fmac_f16_e32 v72, v55, v5
	v_fmac_f16_e64 v144, v56, v6
	v_fmac_f16_e64 v147, v58, v4
	v_fma_f16 v19, v20, v5, -v143
	v_fma_f16 v20, v23, v6, -v145
	;; [unrolled: 1-line block ×10, first 2 shown]
	v_fmac_f16_e64 v150, v60, v12
	v_fmac_f16_e64 v168, v63, v13
	;; [unrolled: 1-line block ×3, first 2 shown]
	v_fma_f16 v50, v51, v15, -v172
	v_fmac_f16_e64 v174, v66, v15
	v_fmac_f16_e64 v155, v62, v8
	;; [unrolled: 1-line block ×5, first 2 shown]
	v_add_f16_e32 v51, v19, v20
	v_add_f16_e32 v55, v23, v57
	v_sub_f16_e32 v58, v19, v23
	v_sub_f16_e32 v60, v20, v57
	v_add_f16_e64 v61, v72, v144
	v_sub_f16_e64 v64, v72, v147
	v_sub_f16_e64 v65, v144, v71
	v_sub_f16_e64 v152, v49, v45
	v_sub_f16_e64 v154, v22, v52
	v_add_f16_e64 v181, v48, v21
	v_add_f16_e64 v183, v53, v46
	;; [unrolled: 1-line block ×6, first 2 shown]
	v_sub_f16_e64 v186, v150, v168
	v_sub_f16_e64 v190, v150, v174
	;; [unrolled: 1-line block ×3, first 2 shown]
	v_add_f16_e64 v150, v150, v174
	v_add_f16_e64 v145, v49, v22
	;; [unrolled: 1-line block ×5, first 2 shown]
	v_add_f16_e32 v56, v47, v23
	v_add_f16_e64 v63, v59, v147
	v_add_f16_e64 v148, v45, v52
	;; [unrolled: 1-line block ×3, first 2 shown]
	v_sub_f16_e64 v184, v46, v48
	v_sub_f16_e64 v192, v46, v50
	;; [unrolled: 1-line block ×3, first 2 shown]
	v_sub_f16_e32 v46, v48, v46
	v_fma_f16 v51, -0.5, v51, v47
	v_fmac_f16_e32 v47, -0.5, v55
	v_add_f16_e32 v55, v58, v60
	v_fma_f16 v167, -0.5, v61, v59
	v_add_f16_e32 v58, v64, v65
	v_add_f16_e64 v61, v152, v154
	v_fma_f16 v65, -0.5, v181, v53
	v_add_f16_e64 v48, v183, v48
	v_add_f16_e64 v152, v188, v168
	v_fma_f16 v154, -0.5, v189, v69
	v_sub_f16_e64 v66, v72, v144
	v_sub_f16_e32 v67, v19, v20
	v_sub_f16_e64 v70, v147, v71
	v_sub_f16_e64 v191, v168, v153
	;; [unrolled: 1-line block ×4, first 2 shown]
	v_fmac_f16_e32 v59, -0.5, v62
	v_fma_f16 v53, -0.5, v182, v53
	v_fmac_f16_e64 v69, -0.5, v150
	v_sub_f16_e64 v178, v49, v22
	v_sub_f16_e64 v179, v155, v175
	;; [unrolled: 1-line block ×3, first 2 shown]
	v_sub_f16_e32 v45, v45, v49
	v_fma_f16 v60, -0.5, v145, v54
	v_fma_f16 v62, -0.5, v157, v68
	v_add_f16_e64 v49, v149, v49
	v_add_f16_e64 v149, v172, v169
	v_sub_f16_e64 v143, v23, v57
	v_sub_f16_e64 v177, v169, v171
	v_sub_f16_e32 v23, v23, v19
	v_fmac_f16_e64 v54, -0.5, v148
	v_fmac_f16_e64 v68, -0.5, v170
	v_add_f16_e32 v19, v56, v19
	v_add_f16_e32 v56, v63, v72
	v_sub_f16_e64 v185, v50, v21
	v_sub_f16_e64 v187, v174, v153
	;; [unrolled: 1-line block ×4, first 2 shown]
	v_add_f16_e32 v21, v48, v21
	v_add_f16_e64 v48, v152, v153
	v_fma_f16 v152, 0x3b9c, v190, v65
	v_fma_f16 v153, 0xbb9c, v192, v154
	v_sub_f16_e64 v173, v169, v155
	v_sub_f16_e64 v155, v155, v169
	v_add_f16_e64 v63, v147, v200
	v_fmamk_f16 v72, v66, 0xbb9c, v47
	v_fmac_f16_e32 v47, 0x3b9c, v66
	v_fma_f16 v147, 0x3b9c, v67, v59
	v_fmac_f16_e32 v59, 0xbb9c, v67
	v_fma_f16 v169, 0xbb9c, v191, v53
	v_fmac_f16_e64 v53, 0x3b9c, v191
	v_fma_f16 v170, 0x3b9c, v193, v69
	v_fmac_f16_e64 v69, 0xbb9c, v193
	v_fmac_f16_e64 v65, 0xbb9c, v190
	v_fmac_f16_e64 v154, 0x3b9c, v192
	v_sub_f16_e64 v176, v171, v175
	v_sub_f16_e64 v197, v52, v22
	;; [unrolled: 1-line block ×3, first 2 shown]
	v_add_f16_e32 v22, v49, v22
	v_add_f16_e64 v49, v149, v171
	v_fma_f16 v149, 0x3b9c, v179, v60
	v_fma_f16 v171, 0xbb9c, v180, v62
	v_sub_f16_e64 v199, v57, v20
	v_fma_f16 v157, 0xbb9c, v177, v54
	v_fmac_f16_e64 v54, 0x3b9c, v177
	v_fma_f16 v168, 0x3b9c, v178, v68
	v_fmac_f16_e64 v68, 0xbb9c, v178
	v_add_f16_e32 v19, v19, v20
	v_add_f16_e64 v20, v56, v144
	v_fmamk_f16 v56, v70, 0x3b9c, v51
	v_fma_f16 v144, 0xbb9c, v143, v167
	v_add_f16_e64 v145, v184, v185
	v_add_f16_e64 v148, v186, v187
	v_fmac_f16_e64 v60, 0xbb9c, v179
	v_fmac_f16_e64 v62, 0x3b9c, v180
	v_fmac_f16_e32 v51, 0xbb9c, v70
	v_fmac_f16_e64 v167, 0x3b9c, v143
	v_fmac_f16_e64 v152, 0x38b4, v191
	;; [unrolled: 1-line block ×3, first 2 shown]
	v_add_f16_e64 v46, v46, v194
	v_add_f16_e64 v150, v195, v196
	v_fmac_f16_e32 v47, 0xb8b4, v70
	v_fmac_f16_e64 v59, 0x38b4, v143
	v_fmac_f16_e64 v169, 0x38b4, v190
	;; [unrolled: 1-line block ×7, first 2 shown]
	v_add_f16_e64 v45, v45, v197
	v_add_f16_e64 v155, v155, v198
	v_fmac_f16_e64 v149, 0x38b4, v177
	v_fmac_f16_e64 v171, 0xb8b4, v178
	v_add_f16_e64 v64, v173, v176
	v_add_f16_e64 v23, v23, v199
	v_fmac_f16_e64 v54, 0xb8b4, v179
	v_fmac_f16_e64 v68, 0x38b4, v180
	v_fmac_f16_e64 v157, 0x38b4, v179
	v_fmac_f16_e64 v168, 0xb8b4, v180
	v_fmac_f16_e32 v56, 0x38b4, v66
	v_fmac_f16_e64 v144, 0xb8b4, v67
	v_fmac_f16_e32 v72, 0x38b4, v70
	v_fmac_f16_e64 v147, 0xb8b4, v143
	v_add_f16_e32 v21, v21, v50
	v_add_f16_e64 v48, v48, v174
	v_fmac_f16_e64 v60, 0xb8b4, v177
	v_fmac_f16_e64 v62, 0x38b4, v178
	v_fmac_f16_e32 v51, 0xb8b4, v66
	v_fmac_f16_e64 v167, 0x38b4, v67
	v_fmac_f16_e64 v152, 0x34f2, v145
	;; [unrolled: 1-line block ×3, first 2 shown]
	v_add_f16_e32 v19, v19, v57
	v_add_f16_e32 v20, v20, v71
	v_fmac_f16_e32 v47, 0x34f2, v55
	v_fmac_f16_e32 v59, 0x34f2, v58
	v_fmac_f16_e64 v169, 0x34f2, v46
	v_fmac_f16_e32 v53, 0x34f2, v46
	v_fmac_f16_e64 v170, 0x34f2, v150
	v_fmac_f16_e64 v69, 0x34f2, v150
	;; [unrolled: 1-line block ×4, first 2 shown]
	v_add_f16_e32 v22, v22, v52
	v_add_f16_e64 v49, v49, v175
	v_fmac_f16_e64 v149, 0x34f2, v45
	v_fmac_f16_e64 v171, 0x34f2, v155
	v_fmac_f16_e32 v54, 0x34f2, v61
	v_fmac_f16_e32 v68, 0x34f2, v64
	v_fmac_f16_e64 v157, 0x34f2, v61
	v_fmac_f16_e64 v168, 0x34f2, v64
	v_fmac_f16_e32 v56, 0x34f2, v23
	v_fmac_f16_e64 v144, 0x34f2, v63
	v_fmac_f16_e32 v72, 0x34f2, v55
	v_fmac_f16_e64 v147, 0x34f2, v58
	v_pack_b32_f16 v21, v21, v48
	v_fmac_f16_e32 v60, 0x34f2, v45
	v_fmac_f16_e64 v62, 0x34f2, v155
	v_fmac_f16_e32 v51, 0x34f2, v23
	v_fmac_f16_e64 v167, 0x34f2, v63
	v_pack_b32_f16 v45, v152, v153
	v_pack_b32_f16 v19, v19, v20
	;; [unrolled: 1-line block ×14, first 2 shown]
	ds_store_2addr_b32 v127, v21, v45 offset1:27
	ds_store_2addr_b32 v127, v46, v47 offset0:54 offset1:81
	ds_store_b32 v127, v48 offset:432
	ds_store_2addr_b32 v126, v22, v49 offset1:27
	ds_store_2addr_b32 v126, v50, v23 offset0:54 offset1:81
	ds_store_b32 v126, v52 offset:432
	;; [unrolled: 3-line block ×3, first 2 shown]
	global_wb scope:SCOPE_SE
	s_wait_dscnt 0x0
	s_barrier_signal -1
	s_barrier_wait -1
	global_inv scope:SCOPE_SE
	ds_load_2addr_b32 v[69:70], v17 offset0:14 offset1:77
	ds_load_2addr_b32 v[67:68], v17 offset0:149 offset1:212
	;; [unrolled: 1-line block ×5, first 2 shown]
	ds_load_2addr_b32 v[53:54], v73 offset1:63
	ds_load_2addr_b32 v[71:72], v73 offset0:135 offset1:198
	v_add_co_u32 v57, s0, s8, v73
	s_wait_alu 0xf1ff
	v_add_co_ci_u32_e64 v58, null, s9, 0, s0
                                        ; implicit-def: $vgpr170
                                        ; implicit-def: $vgpr169
                                        ; implicit-def: $vgpr168
                                        ; implicit-def: $vgpr171
                                        ; implicit-def: $vgpr172
                                        ; implicit-def: $vgpr173
                                        ; implicit-def: $vgpr174
                                        ; implicit-def: $vgpr56
                                        ; implicit-def: $vgpr60
	s_and_saveexec_b32 s0, vcc_lo
	s_cbranch_execz .LBB0_3
; %bb.2:
	v_add_nc_u32_e32 v0, 0x100, v73
	ds_load_2addr_b32 v[55:56], v3 offset0:12 offset1:147
	ds_load_2addr_b32 v[59:60], v2 offset0:26 offset1:161
	;; [unrolled: 1-line block ×3, first 2 shown]
	ds_load_b32 v168, v73 offset:3744
	s_wait_dscnt 0x3
	v_lshrrev_b32_e32 v173, 16, v55
	v_lshrrev_b32_e32 v170, 16, v56
	s_wait_dscnt 0x2
	v_lshrrev_b32_e32 v172, 16, v59
	v_lshrrev_b32_e32 v169, 16, v60
	;; [unrolled: 3-line block ×3, first 2 shown]
	s_wait_dscnt 0x0
	v_lshrrev_b32_e32 v171, 16, v168
.LBB0_3:
	s_wait_alu 0xfffe
	s_or_b32 exec_lo, exec_lo, s0
	v_add_nc_u32_e32 v0, -9, v94
	v_mad_co_u64_u32 v[2:3], null, v94, 24, s[10:11]
	s_wait_dscnt 0x0
	v_lshrrev_b32_e32 v176, 16, v71
	v_lshrrev_b32_e32 v177, 16, v69
	v_cndmask_b32_e32 v0, v0, v1, vcc_lo
	v_lshrrev_b32_e32 v178, 16, v67
	v_lshrrev_b32_e32 v179, 16, v65
	s_clause 0x3
	global_load_b128 v[20:23], v[2:3], off offset:528
	global_load_b64 v[47:48], v[2:3], off offset:544
	global_load_b128 v[16:19], v[2:3], off offset:2040
	global_load_b64 v[49:50], v[2:3], off offset:2056
	v_mul_i32_i24_e32 v1, 24, v0
	v_mul_hi_i32_i24_e32 v0, 24, v0
	v_lshrrev_b32_e32 v180, 16, v63
	v_lshrrev_b32_e32 v181, 16, v61
	;; [unrolled: 1-line block ×3, first 2 shown]
	v_add_co_u32 v45, s0, s10, v1
	s_wait_alu 0xf1ff
	v_add_co_ci_u32_e64 v46, s0, s11, v0, s0
	v_lshrrev_b32_e32 v184, 16, v70
	v_lshrrev_b32_e32 v185, 16, v68
	;; [unrolled: 1-line block ×3, first 2 shown]
	s_clause 0x1
	global_load_b128 v[0:3], v[45:46], off offset:528
	global_load_b64 v[45:46], v[45:46], off offset:544
	v_lshrrev_b32_e32 v187, 16, v64
	v_lshrrev_b32_e32 v188, 16, v62
	;; [unrolled: 1-line block ×4, first 2 shown]
	s_wait_loadcnt 0x5
	v_lshrrev_b32_e32 v157, 16, v20
	v_lshrrev_b32_e32 v155, 16, v21
	;; [unrolled: 1-line block ×4, first 2 shown]
	s_wait_loadcnt 0x4
	v_lshrrev_b32_e32 v152, 16, v47
	v_lshrrev_b32_e32 v150, 16, v48
	s_wait_loadcnt 0x3
	v_lshrrev_b32_e32 v149, 16, v16
	v_lshrrev_b32_e32 v148, 16, v17
	;; [unrolled: 1-line block ×4, first 2 shown]
	s_wait_loadcnt 0x2
	v_lshrrev_b32_e32 v144, 16, v49
	v_lshrrev_b32_e32 v143, 16, v50
	v_mul_f16_e64 v189, v176, v157
	v_mul_f16_e64 v190, v71, v157
	;; [unrolled: 1-line block ×24, first 2 shown]
	v_fma_f16 v71, v71, v20, -v189
	v_fmac_f16_e64 v190, v176, v20
	v_fma_f16 v69, v69, v21, -v191
	v_fmac_f16_e64 v192, v177, v21
	;; [unrolled: 2-line block ×12, first 2 shown]
	s_wait_loadcnt 0x1
	v_lshrrev_b32_e32 v65, 16, v0
	v_lshrrev_b32_e32 v63, 16, v1
	s_wait_loadcnt 0x0
	v_lshrrev_b32_e32 v64, 16, v45
	v_lshrrev_b32_e32 v66, 16, v46
	;; [unrolled: 1-line block ×4, first 2 shown]
	v_add_f16_e64 v183, v71, v178
	v_add_f16_e64 v184, v190, v200
	v_sub_f16_e64 v71, v71, v178
	v_sub_f16_e64 v178, v190, v200
	v_add_f16_e64 v185, v69, v177
	v_add_f16_e64 v186, v192, v198
	v_sub_f16_e64 v69, v69, v177
	v_sub_f16_e64 v177, v192, v198
	;; [unrolled: 4-line block ×6, first 2 shown]
	v_mul_f16_e64 v195, v174, v65
	v_mul_f16_e64 v196, v52, v65
	;; [unrolled: 1-line block ×12, first 2 shown]
	v_add_f16_e64 v207, v185, v183
	v_add_f16_e64 v208, v186, v184
	v_sub_f16_e64 v209, v185, v183
	v_sub_f16_e64 v210, v186, v184
	;; [unrolled: 1-line block ×4, first 2 shown]
	v_add_f16_e64 v211, v67, v69
	v_add_f16_e64 v212, v176, v177
	v_sub_f16_e64 v213, v67, v69
	v_sub_f16_e64 v214, v176, v177
	v_sub_f16_e32 v69, v69, v71
	v_sub_f16_e64 v177, v177, v178
	v_add_f16_e64 v215, v191, v189
	v_add_f16_e64 v216, v192, v190
	v_sub_f16_e64 v217, v191, v189
	v_sub_f16_e64 v218, v192, v190
	;; [unrolled: 1-line block ×5, first 2 shown]
	v_add_f16_e64 v220, v179, v180
	v_sub_f16_e64 v222, v179, v180
	v_sub_f16_e64 v180, v180, v181
	v_fma_f16 v52, v52, v0, -v195
	v_fmac_f16_e64 v196, v174, v0
	v_fma_f16 v55, v55, v1, -v197
	v_fmac_f16_e64 v198, v173, v1
	v_fma_f16 v60, v60, v45, -v203
	v_fmac_f16_e64 v204, v169, v45
	v_fma_f16 v168, v168, v46, -v205
	v_fmac_f16_e64 v206, v171, v46
	v_sub_f16_e64 v185, v187, v185
	v_sub_f16_e64 v186, v188, v186
	v_sub_f16_e32 v67, v71, v67
	v_sub_f16_e64 v176, v178, v176
	v_sub_f16_e64 v189, v189, v193
	v_add_f16_e64 v219, v68, v70
	v_sub_f16_e64 v221, v68, v70
	v_sub_f16_e64 v179, v181, v179
	v_sub_f16_e32 v70, v70, v72
	v_fma_f16 v56, v56, v2, -v199
	v_fmac_f16_e64 v200, v170, v2
	v_fma_f16 v59, v59, v3, -v201
	v_fmac_f16_e64 v202, v172, v3
	v_add_f16_e64 v169, v187, v207
	v_add_f16_e64 v170, v188, v208
	v_mul_f16_e64 v172, 0x3a52, v183
	v_mul_f16_e64 v173, 0x3a52, v184
	;; [unrolled: 1-line block ×6, first 2 shown]
	v_add_f16_e64 v193, v193, v215
	v_add_f16_e64 v194, v194, v216
	v_mul_f16_e64 v190, 0x3a52, v190
	v_mul_f16_e64 v195, 0x2b26, v191
	;; [unrolled: 1-line block ×5, first 2 shown]
	v_add_f16_e64 v207, v52, v168
	v_add_f16_e64 v208, v196, v206
	v_sub_f16_e64 v52, v52, v168
	v_sub_f16_e64 v168, v196, v206
	v_add_f16_e64 v196, v55, v60
	v_add_f16_e64 v206, v198, v204
	v_sub_f16_e32 v68, v72, v68
	v_add_f16_e64 v71, v211, v71
	v_add_f16_e64 v171, v212, v178
	v_mul_f16_e64 v174, 0x2b26, v185
	v_mul_f16_e64 v178, 0x2b26, v186
	v_add_f16_e64 v181, v220, v181
	v_mul_f16_e64 v189, 0x3a52, v189
	v_mul_f16_e64 v199, 0xb846, v221
	;; [unrolled: 1-line block ×3, first 2 shown]
	v_sub_f16_e32 v55, v55, v60
	v_sub_f16_e64 v60, v198, v204
	v_add_f16_e64 v198, v56, v59
	v_add_f16_e64 v204, v200, v202
	v_sub_f16_e32 v56, v59, v56
	v_sub_f16_e64 v59, v202, v200
	v_add_f16_e64 v53, v53, v169
	v_add_f16_e64 v175, v175, v170
	v_fma_f16 v200, 0x3574, v67, v183
	v_fma_f16 v202, 0x3574, v176, v184
	v_fma_f16 v69, v69, 0x3b00, -v183
	v_fma_f16 v177, v177, 0x3b00, -v184
	;; [unrolled: 1-line block ×4, first 2 shown]
	v_add_f16_e64 v54, v54, v193
	v_add_f16_e64 v182, v182, v194
	v_fma_f16 v184, 0x2b26, v192, v190
	v_fma_f16 v187, v217, 0x39e0, -v195
	v_fma_f16 v188, v218, 0x39e0, -v197
	v_fma_f16 v192, 0x3574, v179, v201
	v_fma_f16 v180, v180, 0x3b00, -v201
	v_fma_f16 v179, v179, 0xb574, -v205
	v_add_f16_e64 v195, v196, v207
	v_add_f16_e64 v197, v206, v208
	;; [unrolled: 1-line block ×3, first 2 shown]
	v_fma_f16 v185, 0x2b26, v185, v172
	v_fma_f16 v186, 0x2b26, v186, v173
	v_fma_f16 v174, v209, 0x39e0, -v174
	v_fma_f16 v178, v210, 0x39e0, -v178
	;; [unrolled: 1-line block ×4, first 2 shown]
	v_fma_f16 v183, 0x2b26, v191, v189
	v_fma_f16 v189, v217, 0xb9e0, -v189
	v_fma_f16 v190, v218, 0xb9e0, -v190
	v_fma_f16 v191, 0x3574, v68, v199
	v_fma_f16 v70, v70, 0x3b00, -v199
	v_fma_f16 v68, v68, 0xb574, -v203
	v_sub_f16_e64 v199, v196, v207
	v_sub_f16_e64 v201, v206, v208
	;; [unrolled: 1-line block ×6, first 2 shown]
	v_add_f16_e64 v207, v56, v55
	v_add_f16_e64 v208, v59, v60
	v_sub_f16_e64 v209, v56, v55
	v_sub_f16_e64 v210, v59, v60
	v_sub_f16_e32 v55, v55, v52
	v_sub_f16_e64 v60, v60, v168
	v_fma_f16 v169, 0xbcab, v169, v53
	v_fma_f16 v170, 0xbcab, v170, v175
	v_fmac_f16_e64 v200, 0x370e, v71
	v_fmac_f16_e64 v202, 0x370e, v171
	v_fmac_f16_e32 v69, 0x370e, v71
	v_fmac_f16_e64 v177, 0x370e, v171
	v_fmac_f16_e32 v67, 0x370e, v71
	v_fmac_f16_e64 v176, 0x370e, v171
	v_fma_f16 v71, 0xbcab, v193, v54
	v_fma_f16 v171, 0xbcab, v194, v182
	v_fmac_f16_e64 v192, 0x370e, v181
	v_fmac_f16_e64 v180, 0x370e, v181
	;; [unrolled: 1-line block ×3, first 2 shown]
	v_pack_b32_f16 v53, v53, v175
	v_add_f16_e64 v175, v198, v195
	v_add_f16_e64 v181, v204, v197
	v_sub_f16_e32 v56, v52, v56
	v_sub_f16_e64 v59, v168, v59
	v_fmac_f16_e64 v191, 0x370e, v72
	v_fmac_f16_e32 v70, 0x370e, v72
	v_fmac_f16_e32 v68, 0x370e, v72
	v_pack_b32_f16 v54, v54, v182
	v_mul_f16_e64 v182, 0x3a52, v203
	v_mul_f16_e64 v193, 0x3a52, v205
	;; [unrolled: 1-line block ×8, first 2 shown]
	v_add_f16_e64 v185, v185, v169
	v_add_f16_e64 v186, v186, v170
	;; [unrolled: 1-line block ×16, first 2 shown]
	v_fma_f16 v167, 0x2b26, v196, v182
	v_fma_f16 v187, 0x2b26, v206, v193
	v_fma_f16 v188, v199, 0x39e0, -v194
	v_fma_f16 v189, v201, 0x39e0, -v195
	v_fma_f16 v182, v199, 0xb9e0, -v182
	v_fma_f16 v190, v201, 0xb9e0, -v193
	v_fma_f16 v193, 0x3574, v56, v197
	v_fma_f16 v194, 0x3574, v59, v198
	v_fma_f16 v195, v55, 0x3b00, -v197
	v_fma_f16 v55, v60, 0x3b00, -v198
	;; [unrolled: 1-line block ×4, first 2 shown]
	v_add_f16_e64 v59, v202, v185
	v_sub_f16_e64 v60, v186, v200
	v_add_f16_e64 v197, v176, v169
	v_sub_f16_e64 v198, v170, v67
	v_sub_f16_e64 v199, v174, v177
	v_add_f16_e64 v201, v69, v178
	v_add_f16_e64 v174, v177, v174
	v_sub_f16_e64 v69, v178, v69
	v_sub_f16_e64 v169, v169, v176
	v_add_f16_e64 v67, v67, v170
	v_sub_f16_e64 v170, v185, v202
	v_add_f16_e64 v176, v200, v186
	v_add_f16_e64 v177, v192, v172
	v_sub_f16_e64 v178, v173, v191
	v_add_f16_e64 v185, v179, v71
	v_sub_f16_e64 v186, v171, v68
	v_sub_f16_e64 v200, v183, v180
	v_add_f16_e64 v202, v70, v184
	v_add_f16_e64 v180, v180, v183
	v_sub_f16_e64 v70, v184, v70
	v_sub_f16_e64 v71, v71, v179
	v_add_f16_e64 v68, v68, v171
	v_sub_f16_e64 v171, v172, v192
	v_add_f16_e64 v172, v191, v173
	v_fma_f16 v173, 0xbcab, v175, v51
	v_fma_f16 v175, 0xbcab, v181, v72
	v_fmac_f16_e64 v193, 0x370e, v52
	v_fmac_f16_e64 v194, 0x370e, v168
	;; [unrolled: 1-line block ×6, first 2 shown]
	v_pack_b32_f16 v52, v59, v60
	v_pack_b32_f16 v67, v169, v67
	;; [unrolled: 1-line block ×7, first 2 shown]
	v_add_f16_e64 v70, v167, v173
	v_add_f16_e64 v71, v187, v175
	;; [unrolled: 1-line block ×6, first 2 shown]
	v_pack_b32_f16 v59, v197, v198
	v_pack_b32_f16 v60, v199, v201
	;; [unrolled: 1-line block ×4, first 2 shown]
	ds_store_b32 v73, v52 offset:540
	ds_store_b32 v73, v59 offset:1080
	;; [unrolled: 1-line block ×6, first 2 shown]
	ds_store_2addr_b32 v73, v53, v54 offset1:63
	ds_store_b32 v73, v169 offset:792
	v_add_f16_e64 v52, v194, v70
	v_sub_f16_e64 v68, v71, v193
	v_add_f16_e64 v53, v56, v173
	v_sub_f16_e64 v60, v175, v196
	v_sub_f16_e64 v54, v167, v55
	v_add_f16_e64 v59, v195, v172
	v_add_f16_e64 v55, v55, v167
	v_sub_f16_e64 v67, v172, v195
	v_sub_f16_e64 v56, v173, v56
	v_add_f16_e64 v69, v196, v175
	v_sub_f16_e64 v70, v70, v194
	v_add_f16_e64 v71, v193, v71
	v_pack_b32_f16 v174, v200, v202
	ds_store_b32 v73, v170 offset:1332
	ds_store_b32 v73, v174 offset:1872
	;; [unrolled: 1-line block ×5, first 2 shown]
	s_and_saveexec_b32 s0, vcc_lo
	s_cbranch_execz .LBB0_5
; %bb.4:
	v_perm_b32 v51, v72, v51, 0x5040100
	v_perm_b32 v72, v68, v52, 0x5040100
	v_add_nc_u32_e32 v167, 0x100, v73
	v_perm_b32 v168, v60, v53, 0x5040100
	v_perm_b32 v169, v59, v54, 0x5040100
	v_add_nc_u32_e32 v170, 0x600, v73
	v_perm_b32 v171, v67, v55, 0x5040100
	v_perm_b32 v172, v69, v56, 0x5040100
	v_add_nc_u32_e32 v173, 0xa00, v73
	v_perm_b32 v174, v71, v70, 0x5040100
	ds_store_2addr_b32 v167, v51, v72 offset0:62 offset1:197
	ds_store_2addr_b32 v170, v168, v169 offset0:12 offset1:147
	;; [unrolled: 1-line block ×3, first 2 shown]
	ds_store_b32 v73, v174 offset:3744
.LBB0_5:
	s_wait_alu 0xfffe
	s_or_b32 exec_lo, exec_lo, s0
	global_wb scope:SCOPE_SE
	s_wait_dscnt 0x0
	s_barrier_signal -1
	s_barrier_wait -1
	global_inv scope:SCOPE_SE
	global_load_b32 v171, v[57:58], off offset:3780
	v_lshlrev_b32_e32 v51, 2, v94
	s_add_nc_u64 s[0:1], s[8:9], 0xec4
	s_clause 0xd
	global_load_b32 v181, v51, s[0:1] offset:1260
	global_load_b32 v182, v51, s[0:1] offset:2520
	;; [unrolled: 1-line block ×14, first 2 shown]
	ds_load_2addr_b32 v[169:170], v73 offset1:63
	ds_load_b32 v193, v73 offset:3528
	v_add_nc_u32_e32 v51, 0x200, v73
	v_add_nc_u32_e32 v167, 0x400, v73
	;; [unrolled: 1-line block ×6, first 2 shown]
	s_wait_dscnt 0x1
	v_lshrrev_b32_e32 v172, 16, v169
	v_lshrrev_b32_e32 v194, 16, v170
	s_wait_dscnt 0x0
	v_lshrrev_b32_e32 v195, 16, v193
	s_wait_loadcnt 0xd
	v_lshrrev_b32_e32 v196, 16, v181
	s_wait_loadcnt 0xc
	;; [unrolled: 2-line block ×7, first 2 shown]
	v_lshrrev_b32_e32 v201, 16, v186
	v_lshrrev_b32_e32 v173, 16, v171
	v_mul_f16_e64 v206, v194, v177
	v_mul_f16_e64 v207, v170, v177
	s_wait_loadcnt 0x6
	v_lshrrev_b32_e32 v202, 16, v187
	s_wait_loadcnt 0x4
	v_lshrrev_b32_e32 v204, 16, v189
	v_mul_f16_e64 v174, v172, v173
	v_mul_f16_e64 v173, v169, v173
	v_fma_f16 v206, v170, v179, -v206
	v_fmac_f16_e64 v207, v194, v179
	v_lshrrev_b32_e32 v203, 16, v188
	v_fma_f16 v169, v169, v171, -v174
	v_fmac_f16_e64 v173, v172, v171
	s_wait_loadcnt 0x2
	v_lshrrev_b32_e32 v205, 16, v190
	v_pack_b32_f16 v206, v206, v207
	s_wait_loadcnt 0x1
	v_lshrrev_b32_e32 v194, 16, v191
	v_pack_b32_f16 v169, v169, v173
	ds_store_b32 v73, v169
	v_lshrrev_b32_e32 v169, 16, v180
	ds_load_2addr_b32 v[171:172], v51 offset0:124 offset1:187
	ds_load_2addr_b32 v[175:176], v167 offset0:122 offset1:185
	;; [unrolled: 1-line block ×4, first 2 shown]
	v_mul_f16_e64 v208, v195, v169
	v_mul_f16_e64 v209, v193, v169
	ds_load_2addr_b32 v[169:170], v57 offset0:116 offset1:179
	v_fma_f16 v193, v193, v180, -v208
	v_fmac_f16_e64 v209, v195, v180
	ds_load_2addr_b32 v[179:180], v58 offset0:120 offset1:183
	s_wait_loadcnt 0x0
	v_lshrrev_b32_e32 v195, 16, v192
	v_pack_b32_f16 v193, v193, v209
	s_wait_dscnt 0x5
	v_lshrrev_b32_e32 v207, 16, v172
	s_wait_dscnt 0x4
	v_lshrrev_b32_e32 v211, 16, v175
	;; [unrolled: 2-line block ×4, first 2 shown]
	v_lshrrev_b32_e32 v217, 16, v176
	v_lshrrev_b32_e32 v209, 16, v173
	s_wait_dscnt 0x1
	v_lshrrev_b32_e32 v219, 16, v169
	v_lshrrev_b32_e32 v221, 16, v178
	;; [unrolled: 1-line block ×4, first 2 shown]
	v_mul_f16_e64 v208, v172, v196
	s_wait_dscnt 0x0
	v_lshrrev_b32_e32 v223, 16, v179
	v_lshrrev_b32_e32 v229, 16, v180
	v_mul_f16_e64 v212, v175, v198
	v_mul_f16_e64 v196, v207, v196
	;; [unrolled: 1-line block ×23, first 2 shown]
	v_fmac_f16_e64 v208, v207, v181
	v_fmac_f16_e64 v212, v211, v183
	v_fma_f16 v172, v172, v181, -v196
	v_fma_f16 v175, v175, v183, -v198
	v_fmac_f16_e64 v216, v215, v185
	v_fma_f16 v177, v177, v185, -v200
	v_fmac_f16_e64 v214, v213, v184
	v_fmac_f16_e64 v220, v219, v187
	v_fma_f16 v174, v174, v184, -v199
	v_fma_f16 v169, v169, v187, -v202
	v_fmac_f16_e64 v218, v217, v186
	v_fmac_f16_e64 v224, v223, v189
	v_fma_f16 v176, v176, v186, -v201
	v_fma_f16 v179, v179, v189, -v204
	v_fmac_f16_e64 v210, v209, v182
	v_fmac_f16_e64 v222, v221, v188
	;; [unrolled: 1-line block ×5, first 2 shown]
	v_fma_f16 v173, v173, v182, -v197
	v_fma_f16 v178, v178, v188, -v203
	;; [unrolled: 1-line block ×5, first 2 shown]
	v_pack_b32_f16 v172, v172, v208
	v_pack_b32_f16 v175, v175, v212
	;; [unrolled: 1-line block ×12, first 2 shown]
	ds_store_2addr_b32 v167, v172, v175 offset0:59 offset1:122
	ds_store_2addr_b32 v73, v206, v177 offset0:63 offset1:126
	;; [unrolled: 1-line block ×7, first 2 shown]
	global_wb scope:SCOPE_SE
	s_wait_dscnt 0x0
	s_barrier_signal -1
	s_barrier_wait -1
	global_inv scope:SCOPE_SE
	ds_load_2addr_b32 v[169:170], v73 offset1:63
	ds_load_2addr_b32 v[171:172], v167 offset0:122 offset1:185
	ds_load_2addr_b32 v[173:174], v72 offset0:118 offset1:181
	;; [unrolled: 1-line block ×6, first 2 shown]
	ds_load_b32 v183, v73 offset:3528
	global_wb scope:SCOPE_SE
	s_wait_dscnt 0x0
	s_barrier_signal -1
	s_barrier_wait -1
	global_inv scope:SCOPE_SE
	v_pk_add_f16 v184, v170, v171
	v_pk_add_f16 v185, v171, v174
	v_pk_add_f16 v171, v171, v174 neg_lo:[0,1] neg_hi:[0,1]
	v_pk_add_f16 v186, v175, v172
	v_pk_add_f16 v187, v172, v177
	v_pk_add_f16 v172, v172, v177 neg_lo:[0,1] neg_hi:[0,1]
	;; [unrolled: 3-line block ×5, first 2 shown]
	v_pk_fma_f16 v170, v185, 0.5, v170 op_sel_hi:[1,0,1] neg_lo:[1,0,0] neg_hi:[1,0,0]
	v_pk_mul_f16 v171, 0x3aee, v171 op_sel_hi:[0,1]
	v_pk_fma_f16 v175, v187, 0.5, v175 op_sel_hi:[1,0,1] neg_lo:[1,0,0] neg_hi:[1,0,0]
	v_pk_mul_f16 v172, 0x3aee, v172 op_sel_hi:[0,1]
	;; [unrolled: 2-line block ×5, first 2 shown]
	v_pk_add_f16 v174, v184, v174
	v_pk_add_f16 v184, v170, v171 op_sel:[0,1] op_sel_hi:[1,0] neg_lo:[0,1] neg_hi:[0,1]
	v_pk_add_f16 v170, v170, v171 op_sel:[0,1] op_sel_hi:[1,0]
	v_pk_add_f16 v171, v175, v172 op_sel:[0,1] op_sel_hi:[1,0] neg_lo:[0,1] neg_hi:[0,1]
	v_pk_add_f16 v172, v175, v172 op_sel:[0,1] op_sel_hi:[1,0]
	;; [unrolled: 2-line block ×5, first 2 shown]
	v_pk_add_f16 v173, v191, v173
	v_bfi_b32 v181, 0xffff, v184, v170
	v_bfi_b32 v185, 0xffff, v179, v169
	;; [unrolled: 1-line block ×4, first 2 shown]
	v_pk_add_f16 v177, v186, v177
	v_pk_add_f16 v178, v188, v178
	v_bfi_b32 v184, 0xffff, v171, v172
	v_bfi_b32 v171, 0xffff, v172, v171
	;; [unrolled: 1-line block ×5, first 2 shown]
	v_pk_add_f16 v183, v190, v183
	v_bfi_b32 v179, 0xffff, v180, v182
	ds_store_2addr_b32 v105, v173, v185 offset1:1
	ds_store_b32 v105, v169 offset:8
	ds_store_2addr_b32 v109, v174, v181 offset1:1
	ds_store_b32 v109, v170 offset:8
	;; [unrolled: 2-line block ×5, first 2 shown]
	global_wb scope:SCOPE_SE
	s_wait_dscnt 0x0
	s_barrier_signal -1
	s_barrier_wait -1
	global_inv scope:SCOPE_SE
	ds_load_2addr_b32 v[105:106], v73 offset1:63
	ds_load_2addr_b32 v[107:108], v51 offset0:124 offset1:187
	ds_load_2addr_b32 v[169:170], v72 offset0:118 offset1:181
	;; [unrolled: 1-line block ×6, first 2 shown]
	ds_load_b32 v109, v73 offset:3528
	global_wb scope:SCOPE_SE
	s_wait_dscnt 0x0
	s_barrier_signal -1
	s_barrier_wait -1
	global_inv scope:SCOPE_SE
	v_lshrrev_b32_e32 v179, 16, v105
	v_lshrrev_b32_e32 v180, 16, v108
	;; [unrolled: 1-line block ×11, first 2 shown]
	v_mul_f16_e64 v194, v124, v108
	v_mul_f16_e64 v195, v122, v169
	;; [unrolled: 1-line block ×14, first 2 shown]
	v_fma_f16 v180, v33, v180, -v194
	v_fma_f16 v181, v34, v181, -v195
	;; [unrolled: 1-line block ×4, first 2 shown]
	v_mul_f16_e64 v120, v120, v186
	v_mul_f16_e64 v121, v121, v187
	;; [unrolled: 1-line block ×6, first 2 shown]
	v_fma_f16 v186, v29, v186, -v198
	v_fma_f16 v187, v30, v187, -v199
	;; [unrolled: 1-line block ×6, first 2 shown]
	v_fmac_f16_e32 v124, v33, v108
	v_fmac_f16_e64 v122, v34, v169
	v_fmac_f16_e64 v123, v31, v171
	;; [unrolled: 1-line block ×3, first 2 shown]
	v_lshrrev_b32_e32 v182, 16, v106
	v_fmac_f16_e64 v120, v29, v172
	v_fmac_f16_e64 v121, v30, v175
	;; [unrolled: 1-line block ×5, first 2 shown]
	v_fmac_f16_e32 v115, v26, v109
	v_add_f16_e64 v27, v180, v181
	v_add_f16_e64 v30, v183, v184
	v_lshrrev_b32_e32 v185, 16, v173
	v_lshrrev_b32_e32 v188, 16, v174
	;; [unrolled: 1-line block ×3, first 2 shown]
	v_add_f16_e64 v33, v186, v187
	v_add_f16_e64 v109, v189, v190
	;; [unrolled: 1-line block ×5, first 2 shown]
	v_sub_f16_e64 v25, v180, v181
	v_add_f16_e64 v26, v179, v180
	v_add_f16_e64 v29, v182, v183
	;; [unrolled: 1-line block ×3, first 2 shown]
	v_fmac_f16_e64 v179, -0.5, v27
	v_sub_f16_e32 v27, v124, v122
	v_add_f16_e32 v124, v106, v123
	v_fmac_f16_e64 v182, -0.5, v30
	v_sub_f16_e32 v30, v123, v119
	v_add_f16_e64 v123, v173, v120
	v_add_f16_e64 v177, v120, v121
	;; [unrolled: 1-line block ×7, first 2 shown]
	v_fmac_f16_e64 v185, -0.5, v33
	v_sub_f16_e32 v33, v120, v121
	v_add_f16_e64 v120, v174, v117
	v_fmac_f16_e64 v188, -0.5, v109
	v_sub_f16_e32 v109, v117, v118
	v_add_f16_e32 v117, v107, v116
	v_fmac_f16_e64 v191, -0.5, v171
	v_sub_f16_e32 v116, v116, v115
	v_fma_f16 v105, -0.5, v175, v105
	v_sub_f16_e64 v28, v183, v184
	v_fmac_f16_e64 v106, -0.5, v176
	v_sub_f16_e64 v31, v186, v187
	v_sub_f16_e64 v34, v189, v190
	;; [unrolled: 1-line block ×3, first 2 shown]
	v_fma_f16 v171, 0x3aee, v27, v179
	v_fmac_f16_e64 v179, 0xbaee, v27
	v_add_f16_e32 v27, v124, v119
	v_fma_f16 v119, 0x3aee, v30, v182
	v_fmac_f16_e64 v182, 0xbaee, v30
	v_add_f16_e32 v30, v123, v121
	v_fma_f16 v121, -0.5, v177, v173
	v_fmac_f16_e64 v174, -0.5, v178
	v_fmac_f16_e64 v107, -0.5, v180
	v_add_f16_e64 v26, v26, v181
	v_add_f16_e64 v29, v29, v184
	v_add_f16_e64 v32, v32, v187
	v_add_f16_e64 v108, v108, v190
	v_add_f16_e64 v122, v172, v122
	v_fma_f16 v123, 0x3aee, v33, v185
	v_fmac_f16_e64 v185, 0xbaee, v33
	v_add_f16_e32 v33, v120, v118
	v_fma_f16 v118, 0x3aee, v109, v188
	v_fmac_f16_e64 v188, 0xbaee, v109
	v_add_f16_e32 v109, v117, v115
	v_fma_f16 v115, 0x3aee, v116, v191
	v_fmac_f16_e64 v191, 0xbaee, v116
	v_fmamk_f16 v116, v25, 0xbaee, v105
	v_fmac_f16_e32 v105, 0x3aee, v25
	v_fmamk_f16 v25, v28, 0xbaee, v106
	v_fmac_f16_e32 v106, 0x3aee, v28
	v_add_f16_e64 v170, v170, v193
	v_fmamk_f16 v28, v31, 0xbaee, v121
	v_fmac_f16_e32 v121, 0x3aee, v31
	v_fma_f16 v31, 0xbaee, v34, v174
	v_fmac_f16_e64 v174, 0x3aee, v34
	v_fma_f16 v34, 0xbaee, v169, v107
	v_fmac_f16_e64 v107, 0x3aee, v169
	v_pack_b32_f16 v26, v122, v26
	v_pack_b32_f16 v27, v27, v29
	;; [unrolled: 1-line block ×15, first 2 shown]
	ds_store_2addr_b32 v110, v26, v33 offset1:3
	ds_store_b32 v110, v105 offset:24
	ds_store_2addr_b32 v113, v27, v25 offset1:3
	ds_store_b32 v113, v106 offset:24
	;; [unrolled: 2-line block ×5, first 2 shown]
	global_wb scope:SCOPE_SE
	s_wait_dscnt 0x0
	s_barrier_signal -1
	s_barrier_wait -1
	global_inv scope:SCOPE_SE
	ds_load_2addr_b32 v[25:26], v73 offset1:63
	ds_load_2addr_b32 v[27:28], v51 offset0:124 offset1:187
	ds_load_2addr_b32 v[29:30], v72 offset0:118 offset1:181
	;; [unrolled: 1-line block ×6, first 2 shown]
	ds_load_b32 v109, v73 offset:3528
	global_wb scope:SCOPE_SE
	s_wait_dscnt 0x0
	s_barrier_signal -1
	s_barrier_wait -1
	global_inv scope:SCOPE_SE
	v_lshrrev_b32_e32 v110, 16, v25
	v_lshrrev_b32_e32 v111, 16, v28
	;; [unrolled: 1-line block ×11, first 2 shown]
	v_mul_f16_e64 v169, v142, v28
	v_mul_f16_e64 v170, v140, v29
	;; [unrolled: 1-line block ×16, first 2 shown]
	v_fma_f16 v111, v43, v111, -v169
	v_fma_f16 v112, v44, v112, -v170
	v_mul_f16_e64 v135, v135, v120
	v_mul_f16_e64 v136, v136, v121
	;; [unrolled: 1-line block ×4, first 2 shown]
	v_fmac_f16_e64 v142, v43, v28
	v_fmac_f16_e64 v140, v44, v29
	v_fma_f16 v114, v41, v114, -v171
	v_fma_f16 v115, v42, v115, -v172
	v_fmac_f16_e64 v141, v41, v31
	v_fmac_f16_e64 v137, v42, v30
	v_fma_f16 v117, v39, v117, -v173
	v_fma_f16 v118, v40, v118, -v174
	v_fmac_f16_e64 v138, v39, v32
	v_fmac_f16_e64 v139, v40, v105
	v_lshrrev_b32_e32 v113, 16, v26
	v_lshrrev_b32_e32 v116, 16, v33
	v_fma_f16 v123, v35, v123, -v177
	v_fma_f16 v124, v36, v124, -v178
	v_fmac_f16_e64 v135, v37, v107
	v_fmac_f16_e64 v136, v38, v106
	;; [unrolled: 1-line block ×4, first 2 shown]
	v_add_f16_e32 v30, v111, v112
	v_add_f16_e64 v106, v142, v140
	v_fma_f16 v120, v37, v120, -v175
	v_fma_f16 v121, v38, v121, -v176
	v_add_f16_e32 v35, v114, v115
	v_add_f16_e64 v108, v141, v137
	v_sub_f16_e32 v28, v111, v112
	v_add_f16_e32 v29, v110, v111
	v_add_f16_e32 v38, v117, v118
	v_add_f16_e64 v111, v138, v139
	v_lshrrev_b32_e32 v122, 16, v27
	v_sub_f16_e32 v31, v114, v115
	v_add_f16_e32 v32, v113, v114
	v_sub_f16_e32 v36, v117, v118
	v_add_f16_e32 v37, v116, v117
	v_add_f16_e32 v44, v123, v124
	v_add_f16_e64 v105, v25, v142
	v_fmac_f16_e32 v110, -0.5, v30
	v_sub_f16_e64 v30, v142, v140
	v_add_f16_e64 v114, v135, v136
	v_add_f16_e64 v117, v134, v133
	v_fma_f16 v25, -0.5, v106, v25
	v_lshrrev_b32_e32 v119, 16, v34
	v_add_f16_e32 v41, v120, v121
	v_add_f16_e64 v107, v26, v141
	v_fmac_f16_e32 v113, -0.5, v35
	v_sub_f16_e64 v35, v141, v137
	v_fmac_f16_e32 v26, -0.5, v108
	v_add_f16_e64 v109, v33, v138
	v_fmac_f16_e32 v116, -0.5, v38
	v_sub_f16_e64 v38, v138, v139
	v_fma_f16 v33, -0.5, v111, v33
	v_sub_f16_e32 v39, v120, v121
	v_sub_f16_e32 v42, v123, v124
	v_add_f16_e32 v43, v122, v123
	v_add_f16_e32 v29, v29, v112
	;; [unrolled: 1-line block ×3, first 2 shown]
	v_add_f16_e64 v112, v34, v135
	v_add_f16_e64 v115, v27, v134
	v_fmac_f16_e32 v122, -0.5, v44
	v_sub_f16_e64 v44, v134, v133
	v_add_f16_e64 v105, v105, v140
	v_fmamk_f16 v106, v30, 0x3aee, v110
	v_fmac_f16_e32 v34, -0.5, v114
	v_fmac_f16_e32 v27, -0.5, v117
	v_fmamk_f16 v111, v28, 0xbaee, v25
	v_add_f16_e32 v40, v119, v120
	v_fmac_f16_e32 v119, -0.5, v41
	v_sub_f16_e64 v41, v135, v136
	v_fmac_f16_e32 v110, 0xbaee, v30
	v_fmac_f16_e32 v25, 0x3aee, v28
	v_add_f16_e64 v30, v107, v137
	v_fmamk_f16 v107, v35, 0x3aee, v113
	v_fmamk_f16 v28, v31, 0xbaee, v26
	v_fmac_f16_e32 v113, 0xbaee, v35
	v_fmac_f16_e32 v26, 0x3aee, v31
	v_add_f16_e32 v37, v37, v118
	v_add_f16_e64 v35, v109, v139
	v_fmamk_f16 v108, v38, 0x3aee, v116
	v_fmamk_f16 v31, v36, 0xbaee, v33
	v_fmac_f16_e32 v116, 0xbaee, v38
	v_fmac_f16_e32 v33, 0x3aee, v36
	v_fmamk_f16 v36, v39, 0xbaee, v34
	v_fmac_f16_e32 v34, 0x3aee, v39
	v_fmamk_f16 v39, v42, 0xbaee, v27
	v_fmac_f16_e32 v27, 0x3aee, v42
	v_add_f16_e32 v42, v43, v124
	v_fmamk_f16 v43, v44, 0x3aee, v122
	v_fmac_f16_e32 v122, 0xbaee, v44
	v_pack_b32_f16 v29, v105, v29
	v_pack_b32_f16 v44, v111, v106
	v_add_f16_e32 v40, v40, v121
	v_add_f16_e64 v38, v112, v136
	v_fmamk_f16 v109, v41, 0x3aee, v119
	v_pack_b32_f16 v25, v25, v110
	v_fmac_f16_e32 v119, 0xbaee, v41
	v_pack_b32_f16 v30, v30, v32
	v_pack_b32_f16 v28, v28, v107
	v_add_f16_e64 v41, v115, v133
	v_pack_b32_f16 v26, v26, v113
	v_pack_b32_f16 v32, v35, v37
	;; [unrolled: 1-line block ×3, first 2 shown]
	ds_store_2addr_b32 v128, v29, v44 offset1:9
	ds_store_b32 v128, v25 offset:72
	ds_store_2addr_b32 v132, v30, v28 offset1:9
	ds_store_b32 v132, v26 offset:72
	ds_store_2addr_b32 v129, v32, v31 offset1:9
	v_pack_b32_f16 v25, v33, v116
	v_pack_b32_f16 v26, v38, v40
	;; [unrolled: 1-line block ×7, first 2 shown]
	ds_store_b32 v129, v25 offset:72
	ds_store_2addr_b32 v130, v26, v28 offset1:9
	ds_store_b32 v130, v29 offset:72
	ds_store_2addr_b32 v131, v30, v31 offset1:9
	ds_store_b32 v131, v27 offset:72
	global_wb scope:SCOPE_SE
	s_wait_dscnt 0x0
	s_barrier_signal -1
	s_barrier_wait -1
	global_inv scope:SCOPE_SE
	ds_load_2addr_b32 v[25:26], v73 offset1:63
	ds_load_2addr_b32 v[28:29], v73 offset0:126 offset1:189
	ds_load_2addr_b32 v[30:31], v167 offset0:122 offset1:185
	;; [unrolled: 1-line block ×6, first 2 shown]
	ds_load_b32 v27, v73 offset:3528
	global_wb scope:SCOPE_SE
	s_wait_dscnt 0x0
	s_barrier_signal -1
	s_barrier_wait -1
	global_inv scope:SCOPE_SE
	v_lshrrev_b32_e32 v40, 16, v25
	v_lshrrev_b32_e32 v41, 16, v29
	;; [unrolled: 1-line block ×6, first 2 shown]
	v_mul_f16_e64 v114, v166, v41
	v_lshrrev_b32_e32 v106, 16, v31
	v_mul_f16_e64 v115, v166, v29
	v_mul_f16_e64 v116, v165, v42
	;; [unrolled: 1-line block ×4, first 2 shown]
	v_fmac_f16_e32 v114, v12, v29
	v_mul_f16_e64 v29, v163, v33
	v_lshrrev_b32_e32 v107, 16, v38
	v_lshrrev_b32_e32 v108, 16, v35
	v_fma_f16 v12, v12, v41, -v115
	v_fmac_f16_e32 v116, v13, v30
	v_fma_f16 v13, v13, v42, -v117
	v_fmac_f16_e32 v118, v14, v33
	v_mul_f16_e64 v30, v164, v44
	v_mul_f16_e64 v33, v164, v34
	;; [unrolled: 1-line block ×4, first 2 shown]
	v_fma_f16 v14, v14, v43, -v29
	v_mul_f16_e64 v29, v161, v106
	v_lshrrev_b32_e32 v110, 16, v37
	v_lshrrev_b32_e32 v111, 16, v32
	v_fmac_f16_e32 v30, v15, v34
	v_fma_f16 v15, v15, v44, -v33
	v_fmac_f16_e32 v41, v8, v36
	v_fma_f16 v8, v8, v51, -v42
	v_mul_f16_e64 v33, v161, v31
	v_mul_f16_e64 v34, v160, v107
	;; [unrolled: 1-line block ×4, first 2 shown]
	v_fmac_f16_e32 v29, v9, v31
	v_mul_f16_e64 v31, v159, v35
	v_lshrrev_b32_e32 v112, 16, v39
	v_fma_f16 v9, v9, v106, -v33
	v_fmac_f16_e32 v34, v10, v38
	v_fma_f16 v10, v10, v107, -v36
	v_fmac_f16_e32 v42, v11, v35
	v_mul_f16_e64 v33, v158, v110
	v_mul_f16_e64 v35, v158, v37
	;; [unrolled: 1-line block ×4, first 2 shown]
	v_fma_f16 v11, v11, v108, -v31
	v_add_f16_e32 v31, v116, v118
	v_lshrrev_b32_e32 v113, 16, v27
	v_fmac_f16_e32 v33, v4, v37
	v_fma_f16 v4, v4, v110, -v35
	v_fmac_f16_e32 v36, v5, v32
	v_fma_f16 v5, v5, v111, -v38
	v_mul_f16_e64 v32, v151, v112
	v_mul_f16_e64 v35, v151, v39
	v_add_f16_e32 v38, v25, v114
	v_fma_f16 v31, -0.5, v31, v25
	v_sub_f16_e32 v43, v12, v15
	v_mul_f16_e64 v37, v146, v113
	v_fmac_f16_e32 v32, v6, v39
	v_fma_f16 v6, v6, v112, -v35
	v_add_f16_e32 v35, v38, v116
	v_fmamk_f16 v38, v43, 0xbb9c, v31
	v_sub_f16_e32 v39, v13, v14
	v_sub_f16_e32 v44, v114, v116
	;; [unrolled: 1-line block ×3, first 2 shown]
	v_add_f16_e32 v106, v114, v30
	v_fmac_f16_e32 v31, 0x3b9c, v43
	v_fmac_f16_e32 v37, v7, v27
	v_mul_f16_e64 v27, v146, v27
	v_add_f16_e32 v35, v35, v118
	v_fmac_f16_e32 v38, 0xb8b4, v39
	v_add_f16_e32 v44, v44, v51
	v_fma_f16 v25, -0.5, v106, v25
	v_fmac_f16_e32 v31, 0x38b4, v39
	v_add_f16_e32 v107, v40, v12
	v_add_f16_e32 v108, v13, v14
	v_fma_f16 v7, v7, v113, -v27
	v_add_f16_e32 v35, v35, v30
	v_fmac_f16_e32 v38, 0x34f2, v44
	v_fmamk_f16 v106, v39, 0x3b9c, v25
	v_sub_f16_e32 v27, v116, v114
	v_sub_f16_e32 v51, v118, v30
	v_fmac_f16_e32 v25, 0xbb9c, v39
	v_add_f16_e32 v39, v107, v13
	v_fma_f16 v107, -0.5, v108, v40
	v_sub_f16_e32 v30, v114, v30
	v_fmac_f16_e32 v31, 0x34f2, v44
	v_add_f16_e32 v44, v12, v15
	v_sub_f16_e32 v108, v12, v13
	v_sub_f16_e32 v12, v13, v12
	;; [unrolled: 1-line block ×3, first 2 shown]
	v_fmac_f16_e32 v106, 0xb8b4, v43
	v_add_f16_e32 v27, v27, v51
	v_fmac_f16_e32 v25, 0x38b4, v43
	v_add_f16_e32 v39, v39, v14
	v_fmamk_f16 v43, v30, 0x3b9c, v107
	v_sub_f16_e32 v51, v116, v118
	v_sub_f16_e32 v110, v15, v14
	v_fmac_f16_e32 v40, -0.5, v44
	v_fmac_f16_e32 v107, 0xbb9c, v30
	v_add_f16_e32 v14, v29, v34
	v_add_f16_e32 v12, v12, v13
	;; [unrolled: 1-line block ×3, first 2 shown]
	v_lshrrev_b32_e32 v105, 16, v26
	v_fmac_f16_e32 v106, 0x34f2, v27
	v_fmac_f16_e32 v25, 0x34f2, v27
	v_add_f16_e32 v39, v39, v15
	v_fmac_f16_e32 v43, 0x38b4, v51
	v_add_f16_e32 v27, v108, v110
	v_fmamk_f16 v44, v51, 0xbb9c, v40
	v_fmac_f16_e32 v107, 0xb8b4, v51
	v_fma_f16 v14, -0.5, v14, v26
	v_sub_f16_e32 v15, v8, v11
	v_fmac_f16_e32 v40, 0x3b9c, v51
	v_add_f16_e32 v13, v13, v29
	v_add_f16_e32 v111, v41, v42
	v_fmac_f16_e32 v43, 0x34f2, v27
	v_fmac_f16_e32 v44, 0x38b4, v30
	;; [unrolled: 1-line block ×3, first 2 shown]
	v_fmamk_f16 v108, v15, 0xbb9c, v14
	v_sub_f16_e32 v27, v9, v10
	v_sub_f16_e32 v51, v41, v29
	;; [unrolled: 1-line block ×3, first 2 shown]
	v_fmac_f16_e32 v40, 0xb8b4, v30
	v_add_f16_e32 v13, v13, v34
	v_fmac_f16_e32 v26, -0.5, v111
	v_fmac_f16_e32 v14, 0x3b9c, v15
	v_add_f16_e32 v111, v105, v8
	v_fmac_f16_e32 v44, 0x34f2, v12
	v_fmac_f16_e32 v108, 0xb8b4, v27
	v_add_f16_e32 v30, v51, v110
	v_fmac_f16_e32 v40, 0x34f2, v12
	v_add_f16_e32 v12, v13, v42
	v_fmamk_f16 v13, v27, 0x3b9c, v26
	v_sub_f16_e32 v51, v29, v41
	v_sub_f16_e32 v110, v34, v42
	v_fmac_f16_e32 v14, 0x38b4, v27
	v_add_f16_e32 v112, v9, v10
	v_fmac_f16_e32 v26, 0xbb9c, v27
	v_add_f16_e32 v27, v111, v9
	v_fmac_f16_e32 v13, 0xb8b4, v15
	v_add_f16_e32 v51, v51, v110
	v_fma_f16 v110, -0.5, v112, v105
	v_sub_f16_e32 v41, v41, v42
	v_fmac_f16_e32 v26, 0x38b4, v15
	v_add_f16_e32 v15, v27, v10
	v_add_f16_e32 v27, v8, v11
	v_fmac_f16_e32 v108, 0x34f2, v30
	v_fmac_f16_e32 v14, 0x34f2, v30
	v_fmamk_f16 v30, v41, 0x3b9c, v110
	v_sub_f16_e32 v29, v29, v34
	v_sub_f16_e32 v34, v8, v9
	;; [unrolled: 1-line block ×3, first 2 shown]
	v_fmac_f16_e32 v105, -0.5, v27
	v_fmac_f16_e32 v110, 0xbb9c, v41
	v_sub_f16_e32 v8, v9, v8
	v_sub_f16_e32 v9, v10, v11
	v_add_f16_e32 v10, v36, v32
	v_fmac_f16_e32 v13, 0x34f2, v51
	v_fmac_f16_e32 v26, 0x34f2, v51
	;; [unrolled: 1-line block ×3, first 2 shown]
	v_add_f16_e32 v27, v34, v42
	v_fmamk_f16 v34, v29, 0xbb9c, v105
	v_fmac_f16_e32 v110, 0xb8b4, v29
	v_fmac_f16_e32 v105, 0x3b9c, v29
	v_fma_f16 v51, -0.5, v10, v28
	v_sub_f16_e32 v10, v4, v7
	v_add_f16_e32 v15, v15, v11
	v_fmac_f16_e32 v30, 0x34f2, v27
	v_fmac_f16_e32 v34, 0x38b4, v41
	v_add_f16_e32 v8, v8, v9
	v_add_f16_e32 v9, v28, v33
	v_fmac_f16_e32 v110, 0x34f2, v27
	v_fmac_f16_e32 v105, 0xb8b4, v41
	v_fmamk_f16 v11, v10, 0xbb9c, v51
	v_sub_f16_e32 v27, v5, v6
	v_sub_f16_e32 v29, v33, v36
	;; [unrolled: 1-line block ×3, first 2 shown]
	v_fmac_f16_e32 v51, 0x3b9c, v10
	v_add_f16_e32 v9, v9, v36
	v_add_f16_e32 v42, v33, v37
	v_fmac_f16_e32 v11, 0xb8b4, v27
	v_add_f16_e32 v29, v29, v41
	v_fmac_f16_e32 v51, 0x38b4, v27
	v_lshrrev_b32_e32 v109, 16, v28
	v_add_f16_e32 v9, v9, v32
	v_fmac_f16_e32 v28, -0.5, v42
	v_fmac_f16_e32 v11, 0x34f2, v29
	v_fmac_f16_e32 v51, 0x34f2, v29
	v_add_f16_e32 v29, v5, v6
	v_sub_f16_e32 v41, v36, v33
	v_sub_f16_e32 v42, v32, v37
	v_fmac_f16_e32 v34, 0x34f2, v8
	v_fmac_f16_e32 v105, 0x34f2, v8
	v_add_f16_e32 v8, v9, v37
	v_fmamk_f16 v9, v27, 0x3b9c, v28
	v_fmac_f16_e32 v28, 0xbb9c, v27
	v_fma_f16 v27, -0.5, v29, v109
	v_sub_f16_e32 v29, v33, v37
	v_add_f16_e32 v33, v41, v42
	v_add_f16_e32 v41, v4, v7
	;; [unrolled: 1-line block ×3, first 2 shown]
	v_fmac_f16_e32 v9, 0xb8b4, v10
	v_fmac_f16_e32 v28, 0x38b4, v10
	v_sub_f16_e32 v32, v36, v32
	v_fmac_f16_e32 v109, -0.5, v41
	v_add_f16_e32 v10, v111, v5
	v_fmamk_f16 v37, v29, 0x3b9c, v27
	v_fmac_f16_e32 v9, 0x34f2, v33
	v_fmac_f16_e32 v28, 0x34f2, v33
	v_sub_f16_e32 v33, v4, v5
	v_sub_f16_e32 v36, v7, v6
	v_fmac_f16_e32 v27, 0xbb9c, v29
	v_fmamk_f16 v41, v32, 0xbb9c, v109
	v_sub_f16_e32 v4, v5, v4
	v_sub_f16_e32 v5, v6, v7
	v_fmac_f16_e32 v109, 0x3b9c, v32
	v_add_f16_e32 v10, v10, v6
	v_fmac_f16_e32 v37, 0x38b4, v32
	v_add_f16_e32 v6, v33, v36
	v_fmac_f16_e32 v27, 0xb8b4, v32
	v_fmac_f16_e32 v41, 0x38b4, v29
	v_add_f16_e32 v4, v4, v5
	v_fmac_f16_e32 v109, 0xb8b4, v29
	v_fmac_f16_e32 v37, 0x34f2, v6
	;; [unrolled: 1-line block ×3, first 2 shown]
	v_pack_b32_f16 v6, v38, v43
	v_fmac_f16_e32 v41, 0x34f2, v4
	v_fmac_f16_e32 v109, 0x34f2, v4
	v_pack_b32_f16 v4, v35, v39
	v_add_f16_e32 v5, v10, v7
	v_pack_b32_f16 v7, v106, v44
	v_pack_b32_f16 v10, v25, v40
	;; [unrolled: 1-line block ×5, first 2 shown]
	ds_store_2addr_b32 v127, v4, v6 offset1:27
	ds_store_2addr_b32 v127, v7, v10 offset0:54 offset1:81
	ds_store_b32 v127, v25 offset:432
	ds_store_2addr_b32 v126, v12, v15 offset1:27
	v_pack_b32_f16 v4, v13, v34
	v_pack_b32_f16 v6, v26, v105
	;; [unrolled: 1-line block ×8, first 2 shown]
	ds_store_2addr_b32 v126, v4, v6 offset0:54 offset1:81
	ds_store_b32 v126, v7 offset:432
	ds_store_2addr_b32 v125, v5, v8 offset1:27
	ds_store_2addr_b32 v125, v9, v10 offset0:54 offset1:81
	ds_store_b32 v125, v11 offset:432
	global_wb scope:SCOPE_SE
	s_wait_dscnt 0x0
	s_barrier_signal -1
	s_barrier_wait -1
	global_inv scope:SCOPE_SE
	ds_load_2addr_b32 v[4:5], v73 offset1:63
	ds_load_2addr_b32 v[25:26], v73 offset0:135 offset1:198
	ds_load_2addr_b32 v[14:15], v167 offset0:14 offset1:77
	;; [unrolled: 1-line block ×6, first 2 shown]
	s_and_saveexec_b32 s0, vcc_lo
	s_cbranch_execz .LBB0_7
; %bb.6:
	v_add_nc_u32_e32 v27, 0x100, v73
	ds_load_2addr_b32 v[53:54], v58 offset0:12 offset1:147
	ds_load_2addr_b32 v[55:56], v57 offset0:26 offset1:161
	;; [unrolled: 1-line block ×3, first 2 shown]
	ds_load_b32 v70, v73 offset:3744
	s_wait_dscnt 0x3
	v_lshrrev_b32_e32 v60, 16, v53
	v_lshrrev_b32_e32 v59, 16, v54
	s_wait_dscnt 0x2
	v_lshrrev_b32_e32 v67, 16, v55
	v_lshrrev_b32_e32 v69, 16, v56
	;; [unrolled: 3-line block ×3, first 2 shown]
	s_wait_dscnt 0x0
	v_lshrrev_b32_e32 v71, 16, v70
.LBB0_7:
	s_wait_alu 0xfffe
	s_or_b32 exec_lo, exec_lo, s0
	s_wait_dscnt 0x5
	v_lshrrev_b32_e32 v29, 16, v25
	s_wait_dscnt 0x4
	v_lshrrev_b32_e32 v30, 16, v14
	;; [unrolled: 2-line block ×4, first 2 shown]
	v_mul_f16_e64 v42, v157, v25
	v_mul_f16_e64 v41, v157, v29
	;; [unrolled: 1-line block ×4, first 2 shown]
	s_wait_dscnt 0x1
	v_lshrrev_b32_e32 v33, 16, v8
	s_wait_dscnt 0x0
	v_lshrrev_b32_e32 v34, 16, v6
	v_lshrrev_b32_e32 v36, 16, v26
	v_fmac_f16_e32 v41, v20, v25
	v_fma_f16 v20, v20, v29, -v42
	v_fmac_f16_e32 v43, v21, v14
	v_fma_f16 v14, v21, v30, -v44
	v_mul_f16_e64 v21, v154, v31
	v_mul_f16_e64 v25, v154, v12
	;; [unrolled: 1-line block ×4, first 2 shown]
	v_lshrrev_b32_e32 v37, 16, v15
	v_lshrrev_b32_e32 v38, 16, v13
	;; [unrolled: 1-line block ×3, first 2 shown]
	v_mul_f16_e64 v42, v152, v33
	v_fmac_f16_e32 v21, v22, v12
	v_fma_f16 v12, v22, v31, -v25
	v_fmac_f16_e32 v29, v23, v10
	v_fma_f16 v10, v23, v32, -v30
	v_mul_f16_e64 v22, v150, v34
	v_mul_f16_e64 v23, v150, v6
	v_mul_f16_e64 v25, v149, v36
	v_mul_f16_e64 v30, v149, v26
	v_lshrrev_b32_e32 v40, 16, v9
	v_lshrrev_b32_e32 v57, 16, v7
	v_fmac_f16_e32 v42, v47, v8
	v_mul_f16_e64 v8, v152, v8
	v_fmac_f16_e32 v22, v48, v6
	v_fma_f16 v6, v48, v34, -v23
	v_fmac_f16_e32 v25, v16, v26
	v_fma_f16 v16, v16, v36, -v30
	v_mul_f16_e64 v23, v148, v37
	v_mul_f16_e64 v26, v148, v15
	;; [unrolled: 1-line block ×5, first 2 shown]
	v_fma_f16 v8, v47, v33, -v8
	v_fmac_f16_e32 v23, v17, v15
	v_fma_f16 v15, v17, v37, -v26
	v_fmac_f16_e32 v30, v18, v13
	;; [unrolled: 2-line block ×3, first 2 shown]
	v_mul_f16_e64 v11, v145, v11
	v_mul_f16_e64 v17, v144, v40
	;; [unrolled: 1-line block ×5, first 2 shown]
	v_fma_f16 v11, v19, v39, -v11
	v_fmac_f16_e32 v17, v49, v9
	v_fma_f16 v9, v49, v40, -v18
	v_fmac_f16_e32 v26, v50, v7
	v_fma_f16 v7, v50, v57, -v31
	v_add_f16_e32 v18, v41, v22
	v_add_f16_e32 v19, v20, v6
	v_sub_f16_e32 v6, v20, v6
	v_add_f16_e32 v20, v43, v42
	v_add_f16_e32 v31, v14, v8
	v_sub_f16_e32 v22, v41, v22
	v_sub_f16_e32 v33, v43, v42
	;; [unrolled: 1-line block ×3, first 2 shown]
	v_add_f16_e32 v14, v21, v29
	v_add_f16_e32 v34, v12, v10
	v_sub_f16_e32 v21, v29, v21
	v_sub_f16_e32 v10, v10, v12
	v_add_f16_e32 v12, v20, v18
	v_add_f16_e32 v29, v31, v19
	v_lshrrev_b32_e32 v28, 16, v4
	v_sub_f16_e32 v36, v20, v18
	v_sub_f16_e32 v37, v31, v19
	;; [unrolled: 1-line block ×6, first 2 shown]
	v_add_f16_e32 v38, v21, v33
	v_add_f16_e32 v39, v10, v8
	v_sub_f16_e32 v40, v21, v33
	v_sub_f16_e32 v41, v10, v8
	;; [unrolled: 1-line block ×3, first 2 shown]
	v_add_f16_e32 v12, v14, v12
	v_add_f16_e32 v14, v34, v29
	v_sub_f16_e32 v8, v8, v6
	v_sub_f16_e32 v21, v22, v21
	;; [unrolled: 1-line block ×3, first 2 shown]
	v_add_f16_e32 v22, v38, v22
	v_add_f16_e32 v6, v39, v6
	;; [unrolled: 1-line block ×4, first 2 shown]
	v_mul_f16_e32 v18, 0x3a52, v18
	v_mul_f16_e32 v19, 0x3a52, v19
	;; [unrolled: 1-line block ×8, first 2 shown]
	v_fmamk_f16 v12, v12, 0xbcab, v4
	v_fmamk_f16 v14, v14, 0xbcab, v28
	;; [unrolled: 1-line block ×4, first 2 shown]
	v_fma_f16 v29, v36, 0x39e0, -v29
	v_fma_f16 v34, v37, 0x39e0, -v34
	;; [unrolled: 1-line block ×4, first 2 shown]
	v_fmamk_f16 v36, v21, 0xb574, v38
	v_fmamk_f16 v37, v10, 0xb574, v39
	v_fma_f16 v21, v21, 0x3574, -v40
	v_fma_f16 v10, v10, 0x3574, -v41
	v_fma_f16 v33, v33, 0xbb00, -v38
	v_fma_f16 v8, v8, 0xbb00, -v39
	v_add_f16_e32 v20, v20, v12
	v_add_f16_e32 v31, v31, v14
	;; [unrolled: 1-line block ×6, first 2 shown]
	v_fmac_f16_e32 v36, 0xb70e, v22
	v_fmac_f16_e32 v37, 0xb70e, v6
	;; [unrolled: 1-line block ×6, first 2 shown]
	v_add_f16_e32 v6, v37, v20
	v_sub_f16_e32 v18, v31, v36
	v_add_f16_e32 v19, v10, v12
	v_sub_f16_e32 v22, v14, v21
	v_sub_f16_e32 v10, v12, v10
	v_add_f16_e32 v12, v21, v14
	v_sub_f16_e32 v14, v20, v37
	v_add_f16_e32 v20, v36, v31
	v_add_f16_e32 v21, v25, v26
	;; [unrolled: 1-line block ×3, first 2 shown]
	v_sub_f16_e32 v25, v25, v26
	v_sub_f16_e32 v7, v16, v7
	v_add_f16_e32 v16, v23, v17
	v_add_f16_e32 v26, v15, v9
	v_sub_f16_e32 v17, v23, v17
	v_sub_f16_e32 v9, v15, v9
	v_add_f16_e32 v15, v30, v32
	v_add_f16_e32 v23, v13, v11
	;; [unrolled: 4-line block ×3, first 2 shown]
	v_lshrrev_b32_e32 v35, 16, v5
	v_sub_f16_e32 v38, v29, v8
	v_add_f16_e32 v39, v33, v34
	v_add_f16_e32 v8, v8, v29
	v_sub_f16_e32 v29, v34, v33
	v_sub_f16_e32 v33, v16, v21
	;; [unrolled: 1-line block ×7, first 2 shown]
	v_add_f16_e32 v36, v30, v17
	v_add_f16_e32 v37, v11, v9
	v_sub_f16_e32 v40, v30, v17
	v_sub_f16_e32 v41, v11, v9
	v_add_f16_e32 v13, v15, v13
	v_add_f16_e32 v15, v23, v32
	v_sub_f16_e32 v17, v17, v25
	v_sub_f16_e32 v9, v9, v7
	;; [unrolled: 1-line block ×4, first 2 shown]
	v_add_f16_e32 v23, v36, v25
	v_add_f16_e32 v7, v37, v7
	;; [unrolled: 1-line block ×4, first 2 shown]
	v_mul_f16_e32 v21, 0x3a52, v21
	v_mul_f16_e32 v31, 0x3a52, v31
	;; [unrolled: 1-line block ×8, first 2 shown]
	v_fmamk_f16 v13, v13, 0xbcab, v5
	v_fmamk_f16 v15, v15, 0xbcab, v25
	;; [unrolled: 1-line block ×4, first 2 shown]
	v_fma_f16 v32, v33, 0x39e0, -v32
	v_fma_f16 v35, v34, 0x39e0, -v35
	;; [unrolled: 1-line block ×4, first 2 shown]
	v_fmamk_f16 v33, v30, 0xb574, v36
	v_fmamk_f16 v34, v11, 0xb574, v37
	v_fma_f16 v30, v30, 0x3574, -v40
	v_fma_f16 v11, v11, 0x3574, -v41
	;; [unrolled: 1-line block ×4, first 2 shown]
	v_add_f16_e32 v16, v16, v13
	v_add_f16_e32 v26, v26, v15
	v_fmac_f16_e32 v33, 0xb70e, v23
	v_fmac_f16_e32 v34, 0xb70e, v7
	v_add_f16_e32 v32, v32, v13
	v_add_f16_e32 v35, v35, v15
	;; [unrolled: 1-line block ×4, first 2 shown]
	v_fmac_f16_e32 v11, 0xb70e, v7
	v_fmac_f16_e32 v30, 0xb70e, v23
	v_fmac_f16_e32 v17, 0xb70e, v23
	v_fmac_f16_e32 v9, 0xb70e, v7
	v_add_f16_e32 v7, v34, v16
	v_sub_f16_e32 v21, v26, v33
	v_pack_b32_f16 v6, v6, v18
	v_add_f16_e32 v23, v11, v13
	v_sub_f16_e32 v31, v15, v30
	v_pack_b32_f16 v18, v19, v22
	v_sub_f16_e32 v36, v32, v9
	v_add_f16_e32 v37, v17, v35
	v_pack_b32_f16 v19, v38, v39
	v_add_f16_e32 v9, v9, v32
	v_sub_f16_e32 v17, v35, v17
	v_pack_b32_f16 v8, v8, v29
	v_sub_f16_e32 v11, v13, v11
	v_add_f16_e32 v13, v30, v15
	v_pack_b32_f16 v4, v4, v28
	v_pack_b32_f16 v10, v10, v12
	v_sub_f16_e32 v15, v16, v34
	v_add_f16_e32 v16, v33, v26
	v_pack_b32_f16 v12, v14, v20
	v_pack_b32_f16 v5, v5, v25
	ds_store_b32 v73, v6 offset:540
	ds_store_b32 v73, v18 offset:1080
	;; [unrolled: 1-line block ×6, first 2 shown]
	ds_store_2addr_b32 v73, v4, v5 offset1:63
	v_pack_b32_f16 v4, v7, v21
	v_pack_b32_f16 v5, v23, v31
	;; [unrolled: 1-line block ×6, first 2 shown]
	ds_store_b32 v73, v4 offset:792
	ds_store_b32 v73, v5 offset:1332
	ds_store_b32 v73, v6 offset:1872
	ds_store_b32 v73, v7 offset:2412
	ds_store_b32 v73, v8 offset:2952
	ds_store_b32 v73, v9 offset:3492
	s_and_saveexec_b32 s0, vcc_lo
	s_cbranch_execz .LBB0_9
; %bb.8:
	v_mul_f16_e32 v4, v65, v68
	v_mul_f16_e32 v7, v63, v60
	;; [unrolled: 1-line block ×10, first 2 shown]
	v_fmac_f16_e32 v7, v1, v53
	v_fmac_f16_e32 v4, v0, v52
	v_fma_f16 v12, v46, v71, -v12
	v_fma_f16 v0, v0, v68, -v15
	v_mul_f16_e32 v15, v61, v54
	v_mul_f16_e32 v19, v62, v55
	v_fma_f16 v17, v45, v69, -v17
	v_fma_f16 v1, v1, v60, -v18
	v_fmac_f16_e32 v5, v3, v55
	v_fmac_f16_e32 v6, v2, v54
	;; [unrolled: 1-line block ×4, first 2 shown]
	v_add_f16_e32 v18, v12, v0
	v_fma_f16 v2, v2, v59, -v15
	v_fma_f16 v3, v3, v67, -v19
	v_add_f16_e32 v15, v17, v1
	v_sub_f16_e32 v11, v7, v8
	v_sub_f16_e32 v13, v4, v9
	v_add_f16_e32 v4, v9, v4
	v_add_f16_e32 v20, v2, v3
	;; [unrolled: 1-line block ×4, first 2 shown]
	v_sub_f16_e32 v10, v5, v6
	v_add_f16_e32 v5, v6, v5
	v_sub_f16_e32 v22, v18, v20
	v_add_f16_e32 v21, v20, v21
	;; [unrolled: 2-line block ×3, first 2 shown]
	v_sub_f16_e32 v23, v4, v5
	v_sub_f16_e32 v2, v3, v2
	;; [unrolled: 1-line block ×4, first 2 shown]
	v_add_f16_e32 v20, v5, v20
	v_sub_f16_e32 v14, v10, v11
	v_mul_f16_e32 v3, 0x3a52, v23
	v_sub_f16_e32 v5, v5, v7
	v_sub_f16_e32 v12, v2, v1
	v_add_f16_e32 v17, v51, v20
	v_sub_f16_e32 v16, v13, v10
	v_add_f16_e32 v10, v10, v11
	v_mul_f16_e32 v9, 0x3a52, v22
	v_sub_f16_e32 v25, v0, v2
	v_sub_f16_e32 v11, v11, v13
	v_add_f16_e32 v2, v2, v1
	v_sub_f16_e32 v15, v15, v18
	v_sub_f16_e32 v1, v1, v0
	v_mul_f16_e32 v14, 0x3846, v14
	v_add_f16_e32 v6, v27, v21
	v_mul_f16_e32 v22, 0x2b26, v8
	v_fmamk_f16 v23, v5, 0x2b26, v3
	v_fmamk_f16 v20, v20, 0xbcab, v17
	v_mul_f16_e32 v12, 0x3846, v12
	v_fmamk_f16 v8, v8, 0x2b26, v9
	v_mul_f16_e32 v5, 0x2b26, v5
	v_mul_f16_e32 v27, 0xbb00, v11
	v_sub_f16_e32 v4, v7, v4
	v_fma_f16 v7, v15, 0xb9e0, -v9
	v_mul_f16_e32 v9, 0xbb00, v1
	v_fmamk_f16 v19, v16, 0xb574, v14
	v_add_f16_e32 v10, v10, v13
	v_fmamk_f16 v21, v21, 0xbcab, v6
	v_add_f16_e32 v13, v23, v20
	;; [unrolled: 2-line block ×3, first 2 shown]
	v_fma_f16 v15, v15, 0x39e0, -v22
	v_fma_f16 v11, v11, 0xbb00, -v14
	;; [unrolled: 1-line block ×7, first 2 shown]
	v_fmac_f16_e32 v19, 0xb70e, v10
	v_add_f16_e32 v8, v8, v21
	v_fmac_f16_e32 v23, 0xb70e, v0
	v_add_f16_e32 v5, v15, v21
	v_fmac_f16_e32 v11, 0xb70e, v10
	v_fmac_f16_e32 v2, 0xb70e, v10
	v_add_f16_e32 v7, v7, v21
	v_add_f16_e32 v3, v3, v20
	v_fmac_f16_e32 v9, 0xb70e, v0
	v_fmac_f16_e32 v1, 0xb70e, v0
	v_add_f16_e32 v0, v4, v20
	v_add_f16_e32 v26, v19, v8
	v_sub_f16_e32 v14, v5, v11
	v_add_f16_e32 v5, v11, v5
	v_sub_f16_e32 v8, v8, v19
	v_add_f16_e32 v11, v23, v13
	v_add_f16_e32 v10, v2, v7
	v_sub_f16_e32 v12, v3, v9
	v_add_f16_e32 v15, v1, v0
	v_sub_f16_e32 v2, v7, v2
	;; [unrolled: 2-line block ×3, first 2 shown]
	v_sub_f16_e32 v4, v13, v23
	v_pack_b32_f16 v1, v17, v6
	v_pack_b32_f16 v6, v11, v8
	v_add_nc_u32_e32 v7, 0x100, v73
	v_pack_b32_f16 v2, v3, v2
	v_pack_b32_f16 v0, v0, v5
	v_add_nc_u32_e32 v3, 0x600, v73
	;; [unrolled: 3-line block ×3, first 2 shown]
	v_pack_b32_f16 v4, v4, v26
	ds_store_2addr_b32 v7, v1, v6 offset0:62 offset1:197
	ds_store_2addr_b32 v3, v2, v0 offset0:12 offset1:147
	ds_store_2addr_b32 v9, v5, v8 offset0:26 offset1:161
	ds_store_b32 v73, v4 offset:3744
.LBB0_9:
	s_wait_alu 0xfffe
	s_or_b32 exec_lo, exec_lo, s0
	global_wb scope:SCOPE_SE
	s_wait_dscnt 0x0
	s_barrier_signal -1
	s_barrier_wait -1
	global_inv scope:SCOPE_SE
	ds_load_2addr_b32 v[4:5], v73 offset1:63
	v_mad_co_u64_u32 v[16:17], null, s4, v94, 0
	v_add_nc_u32_e32 v0, 0x200, v73
	v_add_nc_u32_e32 v2, 0x800, v73
	s_mov_b32 s8, 0xbc011567
	s_mov_b32 s9, 0x3f51566a
	ds_load_2addr_b32 v[0:1], v0 offset0:124 offset1:187
	ds_load_2addr_b32 v[2:3], v2 offset0:118 offset1:181
	s_wait_dscnt 0x2
	v_lshrrev_b32_e32 v6, 16, v4
	v_mul_f16_e32 v7, v104, v4
	s_delay_alu instid0(VALU_DEP_2) | instskip(NEXT) | instid1(VALU_DEP_2)
	v_mul_f16_e32 v8, v104, v6
	v_fma_f16 v6, v96, v6, -v7
	s_wait_dscnt 0x1
	v_lshrrev_b32_e32 v10, 16, v1
	v_mul_f16_e32 v9, v103, v1
	v_fmac_f16_e32 v8, v96, v4
	v_cvt_f32_f16_e32 v4, v6
	s_wait_dscnt 0x0
	v_lshrrev_b32_e32 v12, 16, v2
	v_mul_f16_e32 v13, v103, v10
	v_cvt_f32_f16_e32 v8, v8
	v_cvt_f64_f32_e32 v[6:7], v4
	v_fma_f16 v4, v99, v10, -v9
	s_delay_alu instid0(VALU_DEP_4) | instskip(SKIP_2) | instid1(VALU_DEP_4)
	v_fmac_f16_e32 v13, v99, v1
	v_mul_f16_e32 v14, v102, v12
	v_cvt_f64_f32_e32 v[8:9], v8
	v_cvt_f32_f16_e32 v4, v4
	s_delay_alu instid0(VALU_DEP_4) | instskip(NEXT) | instid1(VALU_DEP_4)
	v_cvt_f32_f16_e32 v1, v13
	v_fmac_f16_e32 v14, v98, v2
	s_delay_alu instid0(VALU_DEP_3) | instskip(SKIP_1) | instid1(VALU_DEP_4)
	v_cvt_f64_f32_e32 v[10:11], v4
	v_mul_f16_e32 v4, v102, v2
	v_cvt_f64_f32_e32 v[1:2], v1
	s_delay_alu instid0(VALU_DEP_4) | instskip(SKIP_1) | instid1(VALU_DEP_4)
	v_cvt_f32_f16_e32 v13, v14
	v_mad_co_u64_u32 v[14:15], null, s6, v24, 0
	v_fma_f16 v4, v98, v12, -v4
	s_delay_alu instid0(VALU_DEP_3) | instskip(NEXT) | instid1(VALU_DEP_2)
	v_cvt_f64_f32_e32 v[12:13], v13
	v_cvt_f32_f16_e32 v4, v4
	s_delay_alu instid0(VALU_DEP_1) | instskip(SKIP_1) | instid1(VALU_DEP_1)
	v_cvt_f64_f32_e32 v[18:19], v4
	v_dual_mov_b32 v4, v15 :: v_dual_mov_b32 v15, v17
	v_mad_co_u64_u32 v[20:21], null, s7, v24, v[4:5]
	s_delay_alu instid0(VALU_DEP_2)
	v_mad_co_u64_u32 v[21:22], null, s5, v94, v[15:16]
	v_lshrrev_b32_e32 v4, 16, v5
	s_wait_alu 0xfffe
	v_mul_f64_e32 v[6:7], s[8:9], v[6:7]
	s_movk_i32 s6, 0xf724
	s_mov_b32 s7, -1
	s_delay_alu instid0(VALU_DEP_4) | instskip(SKIP_3) | instid1(VALU_DEP_4)
	v_mov_b32_e32 v15, v20
	v_mul_f64_e32 v[8:9], s[8:9], v[8:9]
	v_mov_b32_e32 v17, v21
	v_mul_f16_e32 v20, v101, v4
	v_lshlrev_b64_e32 v[14:15], 2, v[14:15]
	s_delay_alu instid0(VALU_DEP_3) | instskip(SKIP_1) | instid1(VALU_DEP_4)
	v_lshlrev_b64_e32 v[16:17], 2, v[16:17]
	v_mul_f64_e32 v[10:11], s[8:9], v[10:11]
	v_fmac_f16_e32 v20, v92, v5
	v_mul_f64_e32 v[1:2], s[8:9], v[1:2]
	v_add_co_u32 v14, vcc_lo, s2, v14
	s_wait_alu 0xfffd
	v_add_co_ci_u32_e32 v15, vcc_lo, s3, v15, vcc_lo
	v_cvt_f32_f16_e32 v20, v20
	s_delay_alu instid0(VALU_DEP_3) | instskip(SKIP_1) | instid1(VALU_DEP_3)
	v_add_co_u32 v14, vcc_lo, v14, v16
	s_wait_alu 0xfffd
	v_add_co_ci_u32_e32 v15, vcc_lo, v15, v17, vcc_lo
	v_mul_f64_e32 v[12:13], s[8:9], v[12:13]
	v_mul_f16_e32 v5, v101, v5
	v_mul_f64_e32 v[16:17], s[8:9], v[18:19]
	v_and_or_b32 v6, 0x1ff, v7, v6
	v_lshrrev_b32_e32 v18, 8, v7
	v_bfe_u32 v19, v7, 20, 11
	v_lshrrev_b32_e32 v7, 16, v7
	v_and_or_b32 v8, 0x1ff, v9, v8
	v_cmp_ne_u32_e32 vcc_lo, 0, v6
	v_bfe_u32 v22, v9, 20, 11
	v_lshrrev_b32_e32 v21, 8, v9
	v_sub_nc_u32_e32 v23, 0x3f1, v19
	v_add_nc_u32_e32 v19, 0xfffffc10, v19
	s_wait_alu 0xfffd
	v_cndmask_b32_e64 v6, 0, 1, vcc_lo
	v_and_or_b32 v10, 0x1ff, v11, v10
	v_cmp_ne_u32_e32 vcc_lo, 0, v8
	v_sub_nc_u32_e32 v26, 0x3f1, v22
	v_and_or_b32 v1, 0x1ff, v2, v1
	v_and_or_b32 v6, 0xffe, v18, v6
	v_bfe_u32 v25, v11, 20, 11
	s_wait_alu 0xfffd
	v_cndmask_b32_e64 v8, 0, 1, vcc_lo
	v_cmp_ne_u32_e32 vcc_lo, 0, v10
	v_lshrrev_b32_e32 v24, 8, v11
	v_lshl_or_b32 v31, v19, 12, v6
	v_med3_i32 v18, v23, 0, 13
	v_and_or_b32 v8, 0xffe, v21, v8
	s_wait_alu 0xfffd
	v_cndmask_b32_e64 v10, 0, 1, vcc_lo
	v_cmp_ne_u32_e32 vcc_lo, 0, v6
	v_med3_i32 v21, v26, 0, 13
	v_or_b32_e32 v26, 0x1000, v6
	v_lshrrev_b32_e32 v23, 8, v2
	v_bfe_u32 v27, v2, 20, 11
	s_wait_alu 0xfffd
	v_cndmask_b32_e64 v6, 0, 1, vcc_lo
	v_cmp_ne_u32_e32 vcc_lo, 0, v1
	v_sub_nc_u32_e32 v28, 0x3f1, v25
	v_add_nc_u32_e32 v22, 0xfffffc10, v22
	v_sub_nc_u32_e32 v32, 0x3f1, v27
	v_and_or_b32 v10, 0xffe, v24, v10
	s_wait_alu 0xfffd
	v_cndmask_b32_e64 v1, 0, 1, vcc_lo
	v_med3_i32 v24, v28, 0, 13
	v_or_b32_e32 v28, 0x1000, v8
	v_cmp_ne_u32_e32 vcc_lo, 0, v8
	v_lshrrev_b32_e32 v34, v18, v26
	v_and_or_b32 v1, 0xffe, v23, v1
	v_add_nc_u32_e32 v27, 0xfffffc10, v27
	v_lshl_or_b32 v33, v22, 12, v8
	s_wait_alu 0xfffd
	v_cndmask_b32_e64 v8, 0, 1, vcc_lo
	v_med3_i32 v23, v32, 0, 13
	v_or_b32_e32 v32, 0x1000, v10
	v_lshrrev_b32_e32 v36, v21, v28
	v_lshlrev_b32_e32 v18, v18, v34
	v_cmp_ne_u32_e32 vcc_lo, 0, v1
	v_or_b32_e32 v37, 0x1000, v1
	v_lshl_or_b32 v38, v27, 12, v1
	v_lshlrev_b32_e32 v21, v21, v36
	v_lshrrev_b32_e32 v39, v24, v32
	s_wait_alu 0xfffd
	v_cndmask_b32_e64 v1, 0, 1, vcc_lo
	v_cmp_ne_u32_e32 vcc_lo, v18, v26
	v_lshrrev_b32_e32 v26, v23, v37
	v_cmp_gt_i32_e64 s3, 1, v27
	v_lshlrev_b32_e32 v24, v24, v39
	v_lshl_or_b32 v1, v1, 9, 0x7c00
	s_wait_alu 0xfffd
	v_cndmask_b32_e64 v18, 0, 1, vcc_lo
	v_cmp_ne_u32_e32 vcc_lo, v21, v28
	v_lshlrev_b32_e32 v23, v23, v26
	v_lshl_or_b32 v8, v8, 9, 0x7c00
	v_lshrrev_b32_e32 v9, 16, v9
	v_or_b32_e32 v18, v34, v18
	s_wait_alu 0xfffd
	v_cndmask_b32_e64 v21, 0, 1, vcc_lo
	v_cmp_ne_u32_e32 vcc_lo, v24, v32
	v_lshl_or_b32 v6, v6, 9, 0x7c00
	v_and_or_b32 v12, 0x1ff, v13, v12
	v_lshrrev_b32_e32 v29, 8, v13
	v_or_b32_e32 v21, v36, v21
	s_wait_alu 0xfffd
	v_cndmask_b32_e64 v24, 0, 1, vcc_lo
	v_cmp_gt_i32_e32 vcc_lo, 1, v19
	v_bfe_u32 v30, v13, 20, 11
	v_lshrrev_b32_e32 v2, 16, v2
	s_delay_alu instid0(VALU_DEP_4)
	v_or_b32_e32 v24, v39, v24
	s_wait_alu 0xfffd
	v_cndmask_b32_e32 v18, v31, v18, vcc_lo
	v_cmp_gt_i32_e32 vcc_lo, 1, v22
	v_add_nc_u32_e32 v25, 0xfffffc10, v25
	s_wait_alu 0xfffd
	s_delay_alu instid0(VALU_DEP_3) | instskip(SKIP_1) | instid1(VALU_DEP_3)
	v_dual_cndmask_b32 v21, v33, v21 :: v_dual_and_b32 v28, 7, v18
	v_cmp_ne_u32_e32 vcc_lo, v23, v37
	v_lshl_or_b32 v35, v25, 12, v10
	v_lshrrev_b32_e32 v18, 2, v18
	s_delay_alu instid0(VALU_DEP_4)
	v_cmp_lt_i32_e64 s1, 5, v28
	v_and_b32_e32 v31, 7, v21
	s_wait_alu 0xfffd
	v_cndmask_b32_e64 v23, 0, 1, vcc_lo
	v_cmp_gt_i32_e32 vcc_lo, 1, v25
	v_lshrrev_b32_e32 v21, 2, v21
	v_cmp_eq_u32_e64 s2, 3, v28
	v_cmp_eq_u32_e64 s0, 3, v31
	v_or_b32_e32 v23, v26, v23
	s_wait_alu 0xfffd
	v_cndmask_b32_e32 v24, v35, v24, vcc_lo
	v_cmp_lt_i32_e32 vcc_lo, 5, v31
	s_wait_alu 0xf1ff
	v_cndmask_b32_e64 v23, v38, v23, s3
	s_or_b32 vcc_lo, s0, vcc_lo
	v_cmp_eq_u32_e64 s0, 0x40f, v22
	s_wait_alu 0xfffe
	v_add_co_ci_u32_e32 v21, vcc_lo, 0, v21, vcc_lo
	s_or_b32 vcc_lo, s2, s1
	v_and_b32_e32 v26, 7, v23
	s_wait_alu 0xfffe
	v_add_co_ci_u32_e32 v18, vcc_lo, 0, v18, vcc_lo
	v_cmp_gt_i32_e32 vcc_lo, 31, v22
	v_cmp_eq_u32_e64 s1, 0x40f, v19
	s_mul_u64 s[2:3], s[4:5], 0x4ec
	s_mul_u64 s[4:5], s[4:5], s[6:7]
	s_wait_alu 0xfffd
	v_cndmask_b32_e32 v21, 0x7c00, v21, vcc_lo
	v_cmp_gt_i32_e32 vcc_lo, 31, v19
	s_delay_alu instid0(VALU_DEP_2)
	v_cndmask_b32_e64 v8, v21, v8, s0
	s_wait_alu 0xfffd
	v_cndmask_b32_e32 v18, 0x7c00, v18, vcc_lo
	v_cmp_lt_i32_e32 vcc_lo, 5, v26
	v_cmp_eq_u32_e64 s0, 3, v26
	v_lshrrev_b32_e32 v21, 2, v23
	v_and_or_b32 v8, 0x8000, v9, v8
	v_cndmask_b32_e64 v6, v18, v6, s1
	v_and_b32_e32 v18, 7, v24
	s_or_b32 vcc_lo, s0, vcc_lo
	s_wait_alu 0xfffe
	v_add_co_ci_u32_e32 v9, vcc_lo, 0, v21, vcc_lo
	v_cmp_gt_i32_e32 vcc_lo, 31, v27
	v_and_or_b32 v6, 0x8000, v7, v6
	v_and_b32_e32 v7, 0xffff, v8
	v_cmp_eq_u32_e64 s0, 3, v18
	s_wait_alu 0xfffd
	v_cndmask_b32_e32 v8, 0x7c00, v9, vcc_lo
	v_cmp_ne_u32_e32 vcc_lo, 0, v12
	v_lshl_or_b32 v12, v6, 16, v7
	v_cvt_f64_f32_e32 v[6:7], v20
	s_wait_alu 0xfffd
	v_cndmask_b32_e64 v9, 0, 1, vcc_lo
	v_cmp_eq_u32_e32 vcc_lo, 0x40f, v27
	global_store_b32 v[14:15], v12, off
	v_and_or_b32 v19, 0xffe, v29, v9
	s_wait_alu 0xfffd
	v_cndmask_b32_e32 v1, v8, v1, vcc_lo
	v_cmp_lt_i32_e32 vcc_lo, 5, v18
	v_lshrrev_b32_e32 v9, 2, v24
	v_sub_nc_u32_e32 v8, 0x3f1, v30
	v_or_b32_e32 v18, 0x1000, v19
	v_and_or_b32 v1, 0x8000, v2, v1
	s_or_b32 vcc_lo, s0, vcc_lo
	v_fma_f16 v2, v92, v4, -v5
	s_wait_alu 0xfffe
	v_add_co_ci_u32_e32 v9, vcc_lo, 0, v9, vcc_lo
	v_med3_i32 v8, v8, 0, 13
	v_cmp_ne_u32_e32 vcc_lo, 0, v10
	v_cvt_f32_f16_e32 v2, v2
	s_delay_alu instid0(VALU_DEP_3) | instskip(SKIP_3) | instid1(VALU_DEP_3)
	v_lshrrev_b32_e32 v20, v8, v18
	s_wait_alu 0xfffd
	v_cndmask_b32_e64 v10, 0, 1, vcc_lo
	v_cmp_gt_i32_e32 vcc_lo, 31, v25
	v_lshlrev_b32_e32 v4, v8, v20
	s_delay_alu instid0(VALU_DEP_3) | instskip(SKIP_4) | instid1(VALU_DEP_2)
	v_lshl_or_b32 v10, v10, 9, 0x7c00
	s_wait_alu 0xfffd
	v_cndmask_b32_e32 v9, 0x7c00, v9, vcc_lo
	v_cmp_eq_u32_e32 vcc_lo, 0x40f, v25
	s_wait_alu 0xfffd
	v_cndmask_b32_e32 v8, v9, v10, vcc_lo
	v_and_or_b32 v10, 0x1ff, v17, v16
	v_cmp_ne_u32_e32 vcc_lo, v4, v18
	v_cvt_f64_f32_e32 v[4:5], v2
	v_lshrrev_b32_e32 v9, 16, v11
	v_add_nc_u32_e32 v16, 0xfffffc10, v30
	v_bfe_u32 v18, v17, 20, 11
	s_wait_alu 0xfffd
	v_cndmask_b32_e64 v11, 0, 1, vcc_lo
	v_cmp_ne_u32_e32 vcc_lo, 0, v10
	v_lshrrev_b32_e32 v10, 8, v17
	v_and_or_b32 v8, 0x8000, v9, v8
	v_mul_f64_e32 v[6:7], s[8:9], v[6:7]
	v_or_b32_e32 v9, v20, v11
	s_wait_alu 0xfffd
	v_cndmask_b32_e64 v2, 0, 1, vcc_lo
	v_lshl_or_b32 v11, v16, 12, v19
	v_cmp_gt_i32_e32 vcc_lo, 1, v16
	v_lshrrev_b32_e32 v17, 16, v17
	s_delay_alu instid0(VALU_DEP_4)
	v_and_or_b32 v20, 0xffe, v10, v2
	v_sub_nc_u32_e32 v2, 0x3f1, v18
	v_add_nc_u32_e32 v10, 0x400, v73
	s_wait_alu 0xfffd
	v_cndmask_b32_e32 v9, v11, v9, vcc_lo
	v_and_b32_e32 v11, 0xffff, v1
	v_or_b32_e32 v21, 0x1000, v20
	v_med3_i32 v22, v2, 0, 13
	ds_load_2addr_b32 v[1:2], v10 offset0:122 offset1:185
	v_and_b32_e32 v10, 7, v9
	v_lshl_or_b32 v23, v8, 16, v11
	v_add_co_u32 v8, s1, v14, s2
	v_lshrrev_b32_e32 v11, v22, v21
	s_delay_alu instid0(VALU_DEP_4)
	v_cmp_lt_i32_e32 vcc_lo, 5, v10
	v_cmp_eq_u32_e64 s0, 3, v10
	v_lshrrev_b32_e32 v10, 2, v9
	v_add_nc_u32_e32 v14, 0xfffffc10, v18
	v_lshlrev_b32_e32 v12, v22, v11
	s_wait_alu 0xf1ff
	v_add_co_ci_u32_e64 v9, s1, s3, v15, s1
	s_or_b32 vcc_lo, s0, vcc_lo
	s_wait_alu 0xfffe
	v_add_co_ci_u32_e32 v10, vcc_lo, 0, v10, vcc_lo
	v_cmp_ne_u32_e32 vcc_lo, v12, v21
	v_mul_f64_e32 v[4:5], s[8:9], v[4:5]
	global_store_b32 v[8:9], v23, off
	s_wait_dscnt 0x0
	v_lshrrev_b32_e32 v15, 16, v1
	s_wait_alu 0xfffd
	v_cndmask_b32_e64 v12, 0, 1, vcc_lo
	v_cmp_ne_u32_e32 vcc_lo, 0, v19
	v_lshl_or_b32 v19, v14, 12, v20
	v_and_or_b32 v6, 0x1ff, v7, v6
	v_bfe_u32 v21, v7, 20, 11
	v_or_b32_e32 v11, v11, v12
	s_wait_alu 0xfffd
	v_cndmask_b32_e64 v18, 0, 1, vcc_lo
	v_cmp_gt_i32_e32 vcc_lo, 31, v16
	v_mul_f16_e32 v12, v100, v15
	s_delay_alu instid0(VALU_DEP_3)
	v_lshl_or_b32 v18, v18, 9, 0x7c00
	s_wait_alu 0xfffd
	v_cndmask_b32_e32 v10, 0x7c00, v10, vcc_lo
	v_cmp_gt_i32_e32 vcc_lo, 1, v14
	v_fmac_f16_e32 v12, v91, v1
	v_mul_f16_e32 v1, v100, v1
	s_wait_alu 0xfffd
	v_cndmask_b32_e32 v19, v19, v11, vcc_lo
	v_cmp_eq_u32_e32 vcc_lo, 0x40f, v16
	s_delay_alu instid0(VALU_DEP_3)
	v_fma_f16 v1, v91, v15, -v1
	v_lshrrev_b32_e32 v15, 16, v13
	s_wait_alu 0xfffd
	v_cndmask_b32_e32 v16, v10, v18, vcc_lo
	v_cmp_ne_u32_e32 vcc_lo, 0, v6
	v_cvt_f32_f16_e32 v10, v12
	v_and_b32_e32 v12, 7, v19
	v_lshrrev_b32_e32 v18, 8, v7
	v_cvt_f32_f16_e32 v1, v1
	s_wait_alu 0xfffd
	v_cndmask_b32_e64 v6, 0, 1, vcc_lo
	v_cvt_f64_f32_e32 v[10:11], v10
	v_cmp_lt_i32_e32 vcc_lo, 5, v12
	v_cmp_eq_u32_e64 s0, 3, v12
	v_lshrrev_b32_e32 v12, 2, v19
	v_and_or_b32 v6, 0xffe, v18, v6
	v_sub_nc_u32_e32 v18, 0x3f1, v21
	v_and_or_b32 v4, 0x1ff, v5, v4
	s_or_b32 vcc_lo, s0, vcc_lo
	v_bfe_u32 v25, v5, 20, 11
	s_wait_alu 0xfffe
	v_add_co_ci_u32_e32 v12, vcc_lo, 0, v12, vcc_lo
	v_or_b32_e32 v19, 0x1000, v6
	v_med3_i32 v18, v18, 0, 13
	v_cmp_gt_i32_e32 vcc_lo, 31, v14
	v_and_or_b32 v15, 0x8000, v15, v16
	s_delay_alu instid0(VALU_DEP_3)
	v_lshrrev_b32_e32 v24, v18, v19
	s_wait_alu 0xfffd
	v_cndmask_b32_e32 v22, 0x7c00, v12, vcc_lo
	v_cmp_ne_u32_e32 vcc_lo, 0, v20
	v_cvt_f64_f32_e32 v[12:13], v1
	v_lshlrev_b32_e32 v18, v18, v24
	s_wait_alu 0xfffd
	v_cndmask_b32_e64 v20, 0, 1, vcc_lo
	v_cmp_ne_u32_e32 vcc_lo, 0, v4
	v_lshrrev_b32_e32 v4, 8, v5
	v_lshrrev_b32_e32 v5, 16, v5
	s_delay_alu instid0(VALU_DEP_4) | instskip(SKIP_4) | instid1(VALU_DEP_3)
	v_lshl_or_b32 v20, v20, 9, 0x7c00
	s_wait_alu 0xfffd
	v_cndmask_b32_e64 v1, 0, 1, vcc_lo
	v_cmp_ne_u32_e32 vcc_lo, v18, v19
	v_add_nc_u32_e32 v19, 0xfffffc10, v21
	v_and_or_b32 v1, 0xffe, v4, v1
	s_wait_alu 0xfffd
	v_cndmask_b32_e64 v18, 0, 1, vcc_lo
	s_delay_alu instid0(VALU_DEP_3)
	v_lshl_or_b32 v21, v19, 12, v6
	v_cmp_gt_i32_e32 vcc_lo, 1, v19
	v_sub_nc_u32_e32 v4, 0x3f1, v25
	v_mul_f64_e32 v[10:11], s[8:9], v[10:11]
	v_or_b32_e32 v18, v24, v18
	v_or_b32_e32 v24, 0x1000, v1
	s_delay_alu instid0(VALU_DEP_4) | instskip(SKIP_1) | instid1(VALU_DEP_3)
	v_med3_i32 v4, v4, 0, 13
	s_wait_alu 0xfffd
	v_cndmask_b32_e32 v18, v21, v18, vcc_lo
	v_cmp_eq_u32_e32 vcc_lo, 0x40f, v14
	s_delay_alu instid0(VALU_DEP_2)
	v_and_b32_e32 v16, 7, v18
	s_wait_alu 0xfffd
	v_cndmask_b32_e32 v14, v22, v20, vcc_lo
	v_lshrrev_b32_e32 v20, v4, v24
	v_lshrrev_b32_e32 v22, 16, v7
	v_cmp_lt_i32_e32 vcc_lo, 5, v16
	v_cmp_eq_u32_e64 s0, 3, v16
	v_lshrrev_b32_e32 v16, 2, v18
	v_lshlrev_b32_e32 v4, v4, v20
	v_and_or_b32 v14, 0x8000, v17, v14
	v_mul_f64_e32 v[12:13], s[8:9], v[12:13]
	s_or_b32 vcc_lo, s0, vcc_lo
	s_wait_alu 0xfffe
	v_add_co_ci_u32_e32 v16, vcc_lo, 0, v16, vcc_lo
	v_cmp_ne_u32_e32 vcc_lo, 0, v6
	v_cmp_ne_u32_e64 s1, v4, v24
	s_wait_alu 0xfffd
	v_cndmask_b32_e64 v6, 0, 1, vcc_lo
	s_wait_alu 0xf1ff
	s_delay_alu instid0(VALU_DEP_2) | instskip(NEXT) | instid1(VALU_DEP_2)
	v_cndmask_b32_e64 v4, 0, 1, s1
	v_lshl_or_b32 v6, v6, 9, 0x7c00
	v_add_nc_u32_e32 v17, 0xfffffc10, v25
	s_delay_alu instid0(VALU_DEP_3) | instskip(SKIP_1) | instid1(VALU_DEP_3)
	v_or_b32_e32 v4, v20, v4
	v_and_or_b32 v10, 0x1ff, v11, v10
	v_lshl_or_b32 v18, v17, 12, v1
	v_cmp_gt_i32_e32 vcc_lo, 1, v17
	v_and_b32_e32 v15, 0xffff, v15
	s_delay_alu instid0(VALU_DEP_4)
	v_cmp_ne_u32_e64 s1, 0, v10
	s_wait_alu 0xfffd
	v_cndmask_b32_e32 v4, v18, v4, vcc_lo
	v_cmp_gt_i32_e32 vcc_lo, 31, v19
	v_lshrrev_b32_e32 v18, 16, v3
	v_lshl_or_b32 v20, v14, 16, v15
	s_wait_alu 0xf1ff
	v_cndmask_b32_e64 v10, 0, 1, s1
	v_and_b32_e32 v14, 7, v4
	s_wait_alu 0xfffd
	v_cndmask_b32_e32 v16, 0x7c00, v16, vcc_lo
	v_cmp_eq_u32_e32 vcc_lo, 0x40f, v19
	v_lshrrev_b32_e32 v4, 2, v4
	v_bfe_u32 v19, v11, 20, 11
	v_cmp_eq_u32_e64 s0, 3, v14
	v_and_or_b32 v12, 0x1ff, v13, v12
	s_wait_alu 0xfffd
	v_cndmask_b32_e32 v16, v16, v6, vcc_lo
	v_mul_f16_e32 v6, v97, v18
	v_cmp_lt_i32_e32 vcc_lo, 5, v14
	v_lshrrev_b32_e32 v14, 8, v11
	v_sub_nc_u32_e32 v21, 0x3f1, v19
	v_and_or_b32 v16, 0x8000, v22, v16
	v_fmac_f16_e32 v6, v89, v3
	s_or_b32 vcc_lo, s0, vcc_lo
	v_and_or_b32 v10, 0xffe, v14, v10
	s_wait_alu 0xfffe
	v_add_co_ci_u32_e32 v4, vcc_lo, 0, v4, vcc_lo
	v_cvt_f32_f16_e32 v6, v6
	v_cmp_ne_u32_e32 vcc_lo, 0, v1
	v_med3_i32 v21, v21, 0, 13
	v_mul_f16_e32 v3, v97, v3
	s_delay_alu instid0(VALU_DEP_4)
	v_cvt_f64_f32_e32 v[14:15], v6
	s_wait_alu 0xfffd
	v_cndmask_b32_e64 v1, 0, 1, vcc_lo
	v_or_b32_e32 v6, 0x1000, v10
	v_cmp_gt_i32_e32 vcc_lo, 31, v17
	v_fma_f16 v3, v89, v18, -v3
	v_bfe_u32 v18, v13, 20, 11
	v_lshl_or_b32 v1, v1, 9, 0x7c00
	v_lshrrev_b32_e32 v7, v21, v6
	s_wait_alu 0xfffd
	v_cndmask_b32_e32 v4, 0x7c00, v4, vcc_lo
	v_cmp_eq_u32_e32 vcc_lo, 0x40f, v17
	v_lshrrev_b32_e32 v17, 8, v13
	v_cvt_f32_f16_e32 v3, v3
	v_lshrrev_b32_e32 v13, 16, v13
	s_wait_alu 0xfffd
	v_dual_cndmask_b32 v1, v4, v1 :: v_dual_lshlrev_b32 v4, v21, v7
	v_cmp_ne_u32_e32 vcc_lo, 0, v12
	s_delay_alu instid0(VALU_DEP_2) | instskip(SKIP_4) | instid1(VALU_DEP_3)
	v_and_or_b32 v1, 0x8000, v5, v1
	v_and_b32_e32 v5, 0xffff, v16
	s_wait_alu 0xfffd
	v_cndmask_b32_e64 v12, 0, 1, vcc_lo
	v_cmp_ne_u32_e32 vcc_lo, v4, v6
	v_lshl_or_b32 v1, v1, 16, v5
	s_delay_alu instid0(VALU_DEP_3) | instskip(SKIP_3) | instid1(VALU_DEP_3)
	v_and_or_b32 v12, 0xffe, v17, v12
	s_wait_alu 0xfffd
	v_cndmask_b32_e64 v4, 0, 1, vcc_lo
	v_sub_nc_u32_e32 v17, 0x3f1, v18
	v_or_b32_e32 v21, 0x1000, v12
	s_delay_alu instid0(VALU_DEP_3) | instskip(SKIP_3) | instid1(VALU_DEP_3)
	v_or_b32_e32 v4, v7, v4
	v_add_nc_u32_e32 v19, 0xfffffc10, v19
	v_cvt_f64_f32_e32 v[6:7], v3
	v_med3_i32 v17, v17, 0, 13
	v_lshl_or_b32 v3, v19, 12, v10
	v_cmp_gt_i32_e32 vcc_lo, 1, v19
	s_delay_alu instid0(VALU_DEP_3) | instskip(SKIP_2) | instid1(VALU_DEP_2)
	v_lshrrev_b32_e32 v23, v17, v21
	v_mul_f64_e32 v[14:15], s[8:9], v[14:15]
	s_wait_alu 0xfffd
	v_dual_cndmask_b32 v22, v3, v4 :: v_dual_lshlrev_b32 v17, v17, v23
	v_add_co_u32 v8, vcc_lo, v8, s2
	s_wait_alu 0xfffd
	v_add_co_ci_u32_e32 v9, vcc_lo, s3, v9, vcc_lo
	s_delay_alu instid0(VALU_DEP_3)
	v_and_b32_e32 v16, 7, v22
	v_cmp_ne_u32_e64 s1, v17, v21
	v_lshrrev_b32_e32 v17, 2, v22
	ds_load_2addr_b32 v[3:4], v73 offset0:126 offset1:189
	global_store_b32 v[8:9], v20, off
	v_cmp_lt_i32_e32 vcc_lo, 5, v16
	v_cmp_eq_u32_e64 s0, 3, v16
	s_wait_alu 0xf1ff
	v_cndmask_b32_e64 v5, 0, 1, s1
	v_add_nc_u32_e32 v16, 0xfffffc10, v18
	s_delay_alu instid0(VALU_DEP_3) | instskip(NEXT) | instid1(VALU_DEP_2)
	s_or_b32 vcc_lo, s0, vcc_lo
	v_or_b32_e32 v5, v23, v5
	s_wait_alu 0xfffe
	v_add_co_ci_u32_e32 v17, vcc_lo, 0, v17, vcc_lo
	v_cmp_ne_u32_e32 vcc_lo, 0, v10
	v_lshl_or_b32 v18, v16, 12, v12
	s_wait_alu 0xfffd
	v_cndmask_b32_e64 v10, 0, 1, vcc_lo
	v_cmp_gt_i32_e32 vcc_lo, 1, v16
	s_wait_dscnt 0x0
	v_lshrrev_b32_e32 v21, 16, v3
	s_delay_alu instid0(VALU_DEP_3)
	v_lshl_or_b32 v10, v10, 9, 0x7c00
	s_wait_alu 0xfffd
	v_cndmask_b32_e32 v18, v18, v5, vcc_lo
	v_cmp_gt_i32_e32 vcc_lo, 31, v19
	v_mul_f64_e32 v[5:6], s[8:9], v[6:7]
	s_wait_alu 0xfffd
	v_cndmask_b32_e32 v7, 0x7c00, v17, vcc_lo
	v_cmp_eq_u32_e32 vcc_lo, 0x40f, v19
	v_mul_f16_e32 v17, v95, v21
	v_lshrrev_b32_e32 v19, 16, v11
	s_wait_alu 0xfffd
	v_cndmask_b32_e32 v7, v7, v10, vcc_lo
	s_delay_alu instid0(VALU_DEP_3) | instskip(SKIP_2) | instid1(VALU_DEP_4)
	v_fmac_f16_e32 v17, v86, v3
	v_and_or_b32 v10, 0x1ff, v15, v14
	v_mul_f16_e32 v3, v95, v3
	v_and_or_b32 v7, 0x8000, v19, v7
	s_delay_alu instid0(VALU_DEP_4) | instskip(NEXT) | instid1(VALU_DEP_4)
	v_cvt_f32_f16_e32 v11, v17
	v_cmp_ne_u32_e64 s1, 0, v10
	s_delay_alu instid0(VALU_DEP_4) | instskip(NEXT) | instid1(VALU_DEP_4)
	v_fma_f16 v3, v86, v21, -v3
	v_and_b32_e32 v7, 0xffff, v7
	v_and_b32_e32 v22, 7, v18
	v_cvt_f64_f32_e32 v[10:11], v11
	v_lshrrev_b32_e32 v14, 2, v18
	s_wait_alu 0xf1ff
	v_cndmask_b32_e64 v17, 0, 1, s1
	v_lshrrev_b32_e32 v18, 8, v15
	v_cmp_lt_i32_e32 vcc_lo, 5, v22
	v_cmp_eq_u32_e64 s0, 3, v22
	v_bfe_u32 v22, v15, 20, 11
	v_cvt_f32_f16_e32 v3, v3
	v_and_or_b32 v23, 0xffe, v18, v17
	v_lshrrev_b32_e32 v15, 16, v15
	s_or_b32 vcc_lo, s0, vcc_lo
	v_sub_nc_u32_e32 v17, 0x3f1, v22
	s_wait_alu 0xfffe
	v_add_co_ci_u32_e32 v14, vcc_lo, 0, v14, vcc_lo
	v_cmp_ne_u32_e32 vcc_lo, 0, v12
	v_or_b32_e32 v18, 0x1000, v23
	v_med3_i32 v17, v17, 0, 13
	v_and_or_b32 v5, 0x1ff, v6, v5
	v_bfe_u32 v21, v6, 20, 11
	s_wait_alu 0xfffd
	v_cndmask_b32_e64 v12, 0, 1, vcc_lo
	v_cmp_gt_i32_e32 vcc_lo, 31, v16
	v_add_nc_u32_e32 v22, 0xfffffc10, v22
	s_delay_alu instid0(VALU_DEP_3) | instskip(SKIP_4) | instid1(VALU_DEP_2)
	v_lshl_or_b32 v12, v12, 9, 0x7c00
	s_wait_alu 0xfffd
	v_cndmask_b32_e32 v14, 0x7c00, v14, vcc_lo
	v_cmp_eq_u32_e32 vcc_lo, 0x40f, v16
	s_wait_alu 0xfffd
	v_cndmask_b32_e32 v12, v14, v12, vcc_lo
	v_lshrrev_b32_e32 v14, v17, v18
	v_cmp_ne_u32_e32 vcc_lo, 0, v5
	s_delay_alu instid0(VALU_DEP_3) | instskip(NEXT) | instid1(VALU_DEP_3)
	v_and_or_b32 v19, 0x8000, v13, v12
	v_lshlrev_b32_e32 v16, v17, v14
	s_wait_alu 0xfffd
	v_cndmask_b32_e64 v5, 0, 1, vcc_lo
	v_lshrrev_b32_e32 v17, 8, v6
	v_cvt_f64_f32_e32 v[12:13], v3
	v_mul_f64_e32 v[10:11], s[8:9], v[10:11]
	v_cmp_ne_u32_e32 vcc_lo, v16, v18
	v_sub_nc_u32_e32 v16, 0x3f1, v21
	v_and_or_b32 v5, 0xffe, v17, v5
	v_lshl_or_b32 v7, v19, 16, v7
	s_wait_alu 0xfffd
	v_cndmask_b32_e64 v3, 0, 1, vcc_lo
	v_med3_i32 v25, v16, 0, 13
	v_add_co_u32 v16, vcc_lo, v8, s4
	s_wait_alu 0xfffd
	v_add_co_ci_u32_e32 v17, vcc_lo, s5, v9, vcc_lo
	v_or_b32_e32 v3, v14, v3
	v_lshl_or_b32 v14, v22, 12, v23
	v_or_b32_e32 v24, 0x1000, v5
	v_cmp_gt_i32_e32 vcc_lo, 1, v22
	s_wait_alu 0xfffd
	s_delay_alu instid0(VALU_DEP_3) | instskip(NEXT) | instid1(VALU_DEP_3)
	v_cndmask_b32_e32 v3, v14, v3, vcc_lo
	v_lshrrev_b32_e32 v14, v25, v24
	v_add_co_u32 v18, vcc_lo, v16, s2
	s_wait_alu 0xfffd
	v_add_co_ci_u32_e32 v19, vcc_lo, s3, v17, vcc_lo
	s_delay_alu instid0(VALU_DEP_3)
	v_lshlrev_b32_e32 v8, v25, v14
	v_and_b32_e32 v26, 7, v3
	s_clause 0x1
	global_store_b32 v[16:17], v1, off
	global_store_b32 v[18:19], v7, off
	v_lshrrev_b32_e32 v3, 2, v3
	v_add_nc_u32_e32 v16, 0xfffffc10, v21
	v_cmp_ne_u32_e64 s0, v8, v24
	v_cmp_lt_i32_e32 vcc_lo, 5, v26
	v_lshrrev_b32_e32 v1, 16, v2
	v_lshrrev_b32_e32 v24, 16, v4
	v_lshl_or_b32 v17, v16, 12, v5
	s_wait_alu 0xf1ff
	v_cndmask_b32_e64 v7, 0, 1, s0
	v_cmp_eq_u32_e64 s0, 3, v26
	v_mul_f16_e32 v9, v93, v1
	v_bfe_u32 v20, v11, 20, 11
	s_delay_alu instid0(VALU_DEP_4) | instskip(NEXT) | instid1(VALU_DEP_4)
	v_or_b32_e32 v14, v14, v7
	s_or_b32 vcc_lo, s0, vcc_lo
	v_mul_f64_e32 v[7:8], s[8:9], v[12:13]
	s_wait_alu 0xfffe
	v_add_co_ci_u32_e32 v3, vcc_lo, 0, v3, vcc_lo
	v_cmp_gt_i32_e32 vcc_lo, 1, v16
	v_and_or_b32 v13, 0x1ff, v11, v10
	v_fmac_f16_e32 v9, v84, v2
	v_mul_f16_e32 v2, v93, v2
	s_wait_alu 0xfffd
	v_cndmask_b32_e32 v12, v17, v14, vcc_lo
	v_cmp_gt_i32_e32 vcc_lo, 31, v22
	v_lshrrev_b32_e32 v17, 8, v11
	v_cvt_f32_f16_e32 v9, v9
	v_fma_f16 v1, v84, v1, -v2
	s_wait_alu 0xfffd
	v_dual_cndmask_b32 v3, 0x7c00, v3 :: v_dual_and_b32 v14, 7, v12
	v_cmp_ne_u32_e32 vcc_lo, 0, v13
	v_lshrrev_b32_e32 v12, 2, v12
	v_cvt_f64_f32_e32 v[9:10], v9
	s_delay_alu instid0(VALU_DEP_4)
	v_cmp_eq_u32_e64 s0, 3, v14
	v_cvt_f32_f16_e32 v1, v1
	s_wait_alu 0xfffd
	v_cndmask_b32_e64 v13, 0, 1, vcc_lo
	v_cmp_ne_u32_e32 vcc_lo, 0, v23
	v_lshrrev_b32_e32 v11, 16, v11
	s_delay_alu instid0(VALU_DEP_3)
	v_and_or_b32 v17, 0xffe, v17, v13
	s_wait_alu 0xfffd
	v_cndmask_b32_e64 v21, 0, 1, vcc_lo
	v_cmp_lt_i32_e32 vcc_lo, 5, v14
	v_sub_nc_u32_e32 v13, 0x3f1, v20
	v_add_nc_u32_e32 v20, 0xfffffc10, v20
	s_delay_alu instid0(VALU_DEP_4)
	v_lshl_or_b32 v14, v21, 9, 0x7c00
	s_or_b32 vcc_lo, s0, vcc_lo
	v_or_b32_e32 v21, 0x1000, v17
	s_wait_alu 0xfffe
	v_add_co_ci_u32_e32 v12, vcc_lo, 0, v12, vcc_lo
	v_med3_i32 v13, v13, 0, 13
	v_cmp_eq_u32_e32 vcc_lo, 0x40f, v22
	v_and_or_b32 v7, 0x1ff, v8, v7
	v_bfe_u32 v23, v8, 20, 11
	s_wait_alu 0xfffd
	v_cndmask_b32_e32 v3, v3, v14, vcc_lo
	v_lshrrev_b32_e32 v14, v13, v21
	v_cmp_gt_i32_e32 vcc_lo, 31, v16
	s_delay_alu instid0(VALU_DEP_3)
	v_and_or_b32 v15, 0x8000, v15, v3
	s_wait_alu 0xfffd
	v_cndmask_b32_e32 v22, 0x7c00, v12, vcc_lo
	v_lshlrev_b32_e32 v12, v13, v14
	v_cmp_ne_u32_e32 vcc_lo, 0, v5
	v_mul_f64_e32 v[9:10], s[8:9], v[9:10]
	s_wait_alu 0xfffd
	v_cndmask_b32_e64 v5, 0, 1, vcc_lo
	v_cmp_ne_u32_e32 vcc_lo, v12, v21
	v_lshrrev_b32_e32 v21, 8, v8
	v_cvt_f64_f32_e32 v[12:13], v1
	v_lshrrev_b32_e32 v8, 16, v8
	v_lshl_or_b32 v5, v5, 9, 0x7c00
	s_wait_alu 0xfffd
	v_cndmask_b32_e64 v2, 0, 1, vcc_lo
	v_cmp_ne_u32_e32 vcc_lo, 0, v7
	s_delay_alu instid0(VALU_DEP_2) | instskip(SKIP_4) | instid1(VALU_DEP_3)
	v_or_b32_e32 v2, v14, v2
	s_wait_alu 0xfffd
	v_cndmask_b32_e64 v7, 0, 1, vcc_lo
	v_cmp_eq_u32_e32 vcc_lo, 0x40f, v16
	v_lshl_or_b32 v14, v20, 12, v17
	v_and_or_b32 v1, 0xffe, v21, v7
	v_sub_nc_u32_e32 v7, 0x3f1, v23
	s_wait_alu 0xfffd
	v_cndmask_b32_e32 v5, v22, v5, vcc_lo
	v_cmp_gt_i32_e32 vcc_lo, 1, v20
	v_or_b32_e32 v21, 0x1000, v1
	v_med3_i32 v7, v7, 0, 13
	s_wait_alu 0xfffd
	v_cndmask_b32_e32 v14, v14, v2, vcc_lo
	v_lshrrev_b32_e32 v2, 16, v6
	v_add_nc_u32_e32 v6, 0xa00, v73
	v_lshrrev_b32_e32 v16, v7, v21
	s_delay_alu instid0(VALU_DEP_4) | instskip(NEXT) | instid1(VALU_DEP_4)
	v_and_b32_e32 v22, 7, v14
	v_and_or_b32 v5, 0x8000, v2, v5
	ds_load_2addr_b32 v[2:3], v6 offset0:116 offset1:179
	v_lshlrev_b32_e32 v7, v7, v16
	v_and_b32_e32 v6, 0xffff, v15
	v_cmp_lt_i32_e32 vcc_lo, 5, v22
	v_add_nc_u32_e32 v15, 0xfffffc10, v23
	v_and_or_b32 v9, 0x1ff, v10, v9
	v_cmp_ne_u32_e64 s0, v7, v21
	v_lshl_or_b32 v21, v5, 16, v6
	v_lshrrev_b32_e32 v5, 2, v14
	v_bfe_u32 v23, v10, 20, 11
	s_wait_alu 0xf1ff
	v_cndmask_b32_e64 v7, 0, 1, s0
	v_cmp_eq_u32_e64 s0, 3, v22
	v_lshrrev_b32_e32 v22, 8, v10
	v_lshrrev_b32_e32 v10, 16, v10
	s_delay_alu instid0(VALU_DEP_4) | instskip(NEXT) | instid1(VALU_DEP_4)
	v_or_b32_e32 v6, v16, v7
	s_or_b32 vcc_lo, s0, vcc_lo
	v_lshl_or_b32 v7, v15, 12, v1
	s_wait_alu 0xfffe
	v_add_co_ci_u32_e32 v14, vcc_lo, 0, v5, vcc_lo
	v_cmp_ne_u32_e32 vcc_lo, 0, v17
	s_wait_dscnt 0x0
	v_lshrrev_b32_e32 v17, 16, v2
	s_wait_alu 0xfffd
	v_cndmask_b32_e64 v16, 0, 1, vcc_lo
	v_cmp_gt_i32_e32 vcc_lo, 1, v15
	s_wait_alu 0xfffd
	v_cndmask_b32_e32 v7, v7, v6, vcc_lo
	v_cmp_gt_i32_e32 vcc_lo, 31, v20
	v_mul_f64_e32 v[5:6], s[8:9], v[12:13]
	v_lshl_or_b32 v13, v16, 9, 0x7c00
	v_mul_f16_e32 v16, v90, v17
	s_wait_alu 0xfffd
	v_cndmask_b32_e32 v12, 0x7c00, v14, vcc_lo
	v_cmp_ne_u32_e32 vcc_lo, 0, v9
	v_and_b32_e32 v14, 7, v7
	v_fmac_f16_e32 v16, v83, v2
	v_lshrrev_b32_e32 v7, 2, v7
	v_mul_f16_e32 v2, v90, v2
	s_wait_alu 0xfffd
	v_cndmask_b32_e64 v9, 0, 1, vcc_lo
	v_cmp_eq_u32_e32 vcc_lo, 0x40f, v20
	v_cmp_eq_u32_e64 s0, 3, v14
	s_delay_alu instid0(VALU_DEP_3)
	v_and_or_b32 v9, 0xffe, v22, v9
	s_wait_alu 0xfffd
	v_cndmask_b32_e32 v20, v12, v13, vcc_lo
	v_cmp_lt_i32_e32 vcc_lo, 5, v14
	v_cvt_f32_f16_e32 v12, v16
	v_sub_nc_u32_e32 v16, 0x3f1, v23
	v_or_b32_e32 v14, 0x1000, v9
	v_and_or_b32 v11, 0x8000, v11, v20
	s_or_b32 vcc_lo, s0, vcc_lo
	v_cvt_f64_f32_e32 v[12:13], v12
	s_wait_alu 0xfffe
	v_add_co_ci_u32_e32 v7, vcc_lo, 0, v7, vcc_lo
	v_cmp_ne_u32_e32 vcc_lo, 0, v1
	v_med3_i32 v16, v16, 0, 13
	s_wait_alu 0xfffd
	v_cndmask_b32_e64 v1, 0, 1, vcc_lo
	v_cmp_gt_i32_e32 vcc_lo, 31, v15
	s_delay_alu instid0(VALU_DEP_3) | instskip(NEXT) | instid1(VALU_DEP_3)
	v_lshrrev_b32_e32 v22, v16, v14
	v_lshl_or_b32 v1, v1, 9, 0x7c00
	s_wait_alu 0xfffd
	v_cndmask_b32_e32 v7, 0x7c00, v7, vcc_lo
	v_cmp_eq_u32_e32 vcc_lo, 0x40f, v15
	v_lshlrev_b32_e32 v16, v16, v22
	v_lshrrev_b32_e32 v15, 8, v6
	v_bfe_u32 v20, v6, 20, 11
	s_wait_alu 0xfffd
	v_cndmask_b32_e32 v7, v7, v1, vcc_lo
	v_fma_f16 v1, v83, v17, -v2
	v_and_or_b32 v2, 0x1ff, v6, v5
	v_cmp_ne_u32_e32 vcc_lo, v16, v14
	v_add_nc_u32_e32 v17, 0xfffffc10, v23
	v_and_or_b32 v16, 0x8000, v8, v7
	v_cvt_f32_f16_e32 v1, v1
	v_lshrrev_b32_e32 v6, 16, v6
	s_wait_alu 0xfffd
	v_cndmask_b32_e64 v5, 0, 1, vcc_lo
	v_cmp_ne_u32_e32 vcc_lo, 0, v2
	v_lshl_or_b32 v7, v17, 12, v9
	v_cvt_f64_f32_e32 v[1:2], v1
	s_delay_alu instid0(VALU_DEP_4) | instskip(SKIP_3) | instid1(VALU_DEP_2)
	v_or_b32_e32 v5, v22, v5
	s_wait_alu 0xfffd
	v_cndmask_b32_e64 v14, 0, 1, vcc_lo
	v_cmp_gt_i32_e32 vcc_lo, 1, v17
	v_and_or_b32 v22, 0xffe, v15, v14
	v_and_b32_e32 v14, 0xffff, v11
	v_sub_nc_u32_e32 v11, 0x3f1, v20
	s_wait_alu 0xfffd
	v_cndmask_b32_e32 v5, v7, v5, vcc_lo
	v_mul_f64_e32 v[7:8], s[8:9], v[12:13]
	v_or_b32_e32 v15, 0x1000, v22
	v_add_nc_u32_e32 v20, 0xfffffc10, v20
	v_med3_i32 v23, v11, 0, 13
	v_add_co_u32 v11, vcc_lo, v18, s2
	s_wait_alu 0xfffd
	v_add_co_ci_u32_e32 v12, vcc_lo, s3, v19, vcc_lo
	s_delay_alu instid0(VALU_DEP_3) | instskip(SKIP_3) | instid1(VALU_DEP_4)
	v_lshrrev_b32_e32 v19, v23, v15
	v_lshl_or_b32 v18, v16, 16, v14
	v_and_b32_e32 v16, 7, v5
	v_add_co_u32 v13, vcc_lo, v11, s4
	v_lshlrev_b32_e32 v23, v23, v19
	s_wait_alu 0xfffd
	v_add_co_ci_u32_e32 v14, vcc_lo, s5, v12, vcc_lo
	v_cmp_lt_i32_e32 vcc_lo, 5, v16
	v_cmp_eq_u32_e64 s0, 3, v16
	v_cmp_ne_u32_e64 s1, v23, v15
	v_lshrrev_b32_e32 v5, 2, v5
	v_mul_f16_e32 v23, v88, v24
	v_lshl_or_b32 v25, v20, 12, v22
	s_or_b32 vcc_lo, s0, vcc_lo
	v_cndmask_b32_e64 v15, 0, 1, s1
	s_wait_alu 0xfffe
	v_add_co_ci_u32_e32 v5, vcc_lo, 0, v5, vcc_lo
	v_cmp_ne_u32_e32 vcc_lo, 0, v9
	v_fmac_f16_e32 v23, v81, v4
	v_or_b32_e32 v19, v19, v15
	v_mul_f64_e32 v[15:16], s[8:9], v[1:2]
	v_mul_f16_e32 v4, v88, v4
	s_wait_alu 0xfffd
	v_cndmask_b32_e64 v1, 0, 1, vcc_lo
	v_cmp_gt_i32_e32 vcc_lo, 1, v20
	v_cvt_f32_f16_e32 v2, v23
	v_fma_f16 v4, v81, v24, -v4
	s_wait_alu 0xfffd
	v_dual_cndmask_b32 v9, v25, v19 :: v_dual_add_nc_u32 v24, 0x600, v73
	v_cmp_gt_i32_e32 vcc_lo, 31, v17
	v_lshl_or_b32 v19, v1, 9, 0x7c00
	v_and_or_b32 v7, 0x1ff, v8, v7
	v_cvt_f64_f32_e32 v[1:2], v2
	v_and_b32_e32 v23, 7, v9
	s_wait_alu 0xfffd
	v_cndmask_b32_e32 v5, 0x7c00, v5, vcc_lo
	v_cmp_eq_u32_e32 vcc_lo, 0x40f, v17
	v_cmp_ne_u32_e64 s0, 0, v7
	v_lshrrev_b32_e32 v17, 8, v8
	v_cvt_f32_f16_e32 v4, v4
	s_wait_alu 0xfffd
	v_cndmask_b32_e32 v5, v5, v19, vcc_lo
	v_cmp_lt_i32_e32 vcc_lo, 5, v23
	s_wait_alu 0xf1ff
	v_cndmask_b32_e64 v7, 0, 1, s0
	v_cmp_eq_u32_e64 s0, 3, v23
	v_bfe_u32 v19, v8, 20, 11
	v_and_or_b32 v23, 0x8000, v10, v5
	v_lshrrev_b32_e32 v5, 2, v9
	v_and_or_b32 v17, 0xffe, v17, v7
	s_or_b32 vcc_lo, s0, vcc_lo
	v_sub_nc_u32_e32 v7, 0x3f1, v19
	v_add_nc_u32_e32 v19, 0xfffffc10, v19
	s_wait_alu 0xfffe
	v_add_co_ci_u32_e32 v5, vcc_lo, 0, v5, vcc_lo
	v_cmp_ne_u32_e32 vcc_lo, 0, v22
	v_or_b32_e32 v22, 0x1000, v17
	v_med3_i32 v7, v7, 0, 13
	v_cmp_eq_u32_e64 s1, 0x40f, v19
	s_wait_alu 0xfffd
	v_cndmask_b32_e64 v9, 0, 1, vcc_lo
	v_cmp_gt_i32_e32 vcc_lo, 31, v20
	v_lshrrev_b32_e32 v25, v7, v22
	v_and_or_b32 v10, 0x1ff, v16, v15
	v_lshrrev_b32_e32 v26, 8, v16
	v_lshl_or_b32 v9, v9, 9, 0x7c00
	s_wait_alu 0xfffd
	v_cndmask_b32_e32 v5, 0x7c00, v5, vcc_lo
	v_cmp_eq_u32_e32 vcc_lo, 0x40f, v20
	v_lshlrev_b32_e32 v7, v7, v25
	v_bfe_u32 v27, v16, 20, 11
	s_wait_alu 0xfffd
	v_cndmask_b32_e32 v15, v5, v9, vcc_lo
	v_cmp_ne_u32_e32 vcc_lo, 0, v10
	v_cvt_f64_f32_e32 v[4:5], v4
	v_mul_f64_e32 v[9:10], s[8:9], v[1:2]
	ds_load_2addr_b32 v[1:2], v24 offset0:120 offset1:183
	v_lshl_or_b32 v24, v19, 12, v17
	s_wait_alu 0xfffd
	v_cndmask_b32_e64 v20, 0, 1, vcc_lo
	v_cmp_ne_u32_e32 vcc_lo, v7, v22
	v_sub_nc_u32_e32 v22, 0x3f1, v27
	v_and_or_b32 v6, 0x8000, v6, v15
	v_and_b32_e32 v15, 0xffff, v23
	v_and_or_b32 v20, 0xffe, v26, v20
	s_wait_alu 0xfffd
	v_cndmask_b32_e64 v7, 0, 1, vcc_lo
	v_med3_i32 v22, v22, 0, 13
	v_cmp_gt_i32_e32 vcc_lo, 1, v19
	global_store_b32 v[11:12], v21, off
	global_store_b32 v[13:14], v18, off
	v_lshl_or_b32 v15, v6, 16, v15
	v_or_b32_e32 v7, v25, v7
	v_or_b32_e32 v25, 0x1000, v20
	s_wait_alu 0xfffd
	s_delay_alu instid0(VALU_DEP_2) | instskip(NEXT) | instid1(VALU_DEP_2)
	v_cndmask_b32_e32 v23, v24, v7, vcc_lo
	v_lshrrev_b32_e32 v24, v22, v25
	s_wait_dscnt 0x0
	v_lshrrev_b32_e32 v18, 16, v1
	v_add_co_u32 v6, vcc_lo, v13, s2
	v_and_b32_e32 v11, 7, v23
	v_lshlrev_b32_e32 v12, v22, v24
	s_wait_alu 0xfffd
	v_add_co_ci_u32_e32 v7, vcc_lo, s3, v14, vcc_lo
	v_mul_f16_e32 v13, v87, v18
	v_cmp_lt_i32_e32 vcc_lo, 5, v11
	v_cmp_ne_u32_e64 s0, v12, v25
	v_add_nc_u32_e32 v14, 0xfffffc10, v27
	global_store_b32 v[6:7], v15, off
	v_fmac_f16_e32 v13, v78, v1
	v_mul_f16_e32 v1, v87, v1
	s_wait_alu 0xf1ff
	v_cndmask_b32_e64 v12, 0, 1, s0
	v_cmp_eq_u32_e64 s0, 3, v11
	v_lshrrev_b32_e32 v11, 2, v23
	v_mul_f64_e32 v[4:5], s[8:9], v[4:5]
	v_lshl_or_b32 v21, v14, 12, v20
	v_or_b32_e32 v12, v24, v12
	s_or_b32 vcc_lo, s0, vcc_lo
	v_and_or_b32 v9, 0x1ff, v10, v9
	s_wait_alu 0xfffe
	v_add_co_ci_u32_e32 v22, vcc_lo, 0, v11, vcc_lo
	v_cmp_gt_i32_e32 vcc_lo, 1, v14
	v_cvt_f32_f16_e32 v13, v13
	v_bfe_u32 v23, v10, 20, 11
	v_fma_f16 v1, v78, v18, -v1
	s_wait_alu 0xfffd
	v_cndmask_b32_e32 v21, v21, v12, vcc_lo
	v_cmp_ne_u32_e32 vcc_lo, 0, v9
	v_cvt_f64_f32_e32 v[11:12], v13
	v_lshrrev_b32_e32 v13, 8, v10
	v_cvt_f32_f16_e32 v1, v1
	v_and_b32_e32 v24, 7, v21
	s_wait_alu 0xfffd
	v_cndmask_b32_e64 v9, 0, 1, vcc_lo
	v_cmp_ne_u32_e32 vcc_lo, 0, v17
	v_lshrrev_b32_e32 v21, 2, v21
	v_lshrrev_b32_e32 v10, 16, v10
	v_cmp_eq_u32_e64 s0, 3, v24
	v_and_or_b32 v13, 0xffe, v13, v9
	v_sub_nc_u32_e32 v9, 0x3f1, v23
	s_wait_alu 0xfffd
	v_cndmask_b32_e64 v17, 0, 1, vcc_lo
	v_cmp_gt_i32_e32 vcc_lo, 31, v19
	v_add_nc_u32_e32 v23, 0xfffffc10, v23
	v_or_b32_e32 v25, 0x1000, v13
	v_med3_i32 v9, v9, 0, 13
	v_lshl_or_b32 v17, v17, 9, 0x7c00
	s_wait_alu 0xfffd
	v_cndmask_b32_e32 v22, 0x7c00, v22, vcc_lo
	v_cmp_lt_i32_e32 vcc_lo, 5, v24
	v_lshrrev_b32_e32 v19, v9, v25
	s_delay_alu instid0(VALU_DEP_3)
	v_cndmask_b32_e64 v17, v22, v17, s1
	s_or_b32 vcc_lo, s0, vcc_lo
	v_lshrrev_b32_e32 v22, 16, v8
	s_wait_alu 0xfffe
	v_add_co_ci_u32_e32 v21, vcc_lo, 0, v21, vcc_lo
	v_lshlrev_b32_e32 v8, v9, v19
	v_cmp_gt_i32_e32 vcc_lo, 31, v14
	v_and_or_b32 v4, 0x1ff, v5, v4
	v_lshrrev_b32_e32 v24, 8, v5
	v_and_or_b32 v17, 0x8000, v22, v17
	s_wait_alu 0xfffd
	v_cndmask_b32_e32 v21, 0x7c00, v21, vcc_lo
	v_cmp_ne_u32_e32 vcc_lo, v8, v25
	v_bfe_u32 v25, v5, 20, 11
	v_and_b32_e32 v15, 0xffff, v17
	v_lshrrev_b32_e32 v5, 16, v5
	v_mul_f64_e32 v[8:9], s[8:9], v[11:12]
	s_wait_alu 0xfffd
	v_cndmask_b32_e64 v18, 0, 1, vcc_lo
	v_cmp_ne_u32_e32 vcc_lo, 0, v4
	v_cvt_f64_f32_e32 v[11:12], v1
	s_delay_alu instid0(VALU_DEP_3)
	v_or_b32_e32 v18, v19, v18
	s_wait_alu 0xfffd
	v_cndmask_b32_e64 v4, 0, 1, vcc_lo
	v_cmp_ne_u32_e32 vcc_lo, 0, v20
	v_sub_nc_u32_e32 v20, 0x3f1, v25
	v_lshl_or_b32 v19, v23, 12, v13
	s_delay_alu instid0(VALU_DEP_4)
	v_and_or_b32 v4, 0xffe, v24, v4
	s_wait_alu 0xfffd
	v_cndmask_b32_e64 v1, 0, 1, vcc_lo
	v_cmp_gt_i32_e32 vcc_lo, 1, v23
	v_med3_i32 v20, v20, 0, 13
	v_or_b32_e32 v24, 0x1000, v4
	s_delay_alu instid0(VALU_DEP_4)
	v_lshl_or_b32 v1, v1, 9, 0x7c00
	s_wait_alu 0xfffd
	v_cndmask_b32_e32 v18, v19, v18, vcc_lo
	v_cmp_eq_u32_e32 vcc_lo, 0x40f, v14
	v_lshrrev_b32_e32 v14, 16, v16
	v_lshrrev_b32_e32 v16, v20, v24
	s_delay_alu instid0(VALU_DEP_4)
	v_and_b32_e32 v19, 7, v18
	s_wait_alu 0xfffd
	v_cndmask_b32_e32 v1, v21, v1, vcc_lo
	v_lshrrev_b32_e32 v17, 2, v18
	v_add_nc_u32_e32 v18, 0xfffffc10, v25
	v_cmp_lt_i32_e32 vcc_lo, 5, v19
	s_delay_alu instid0(VALU_DEP_4) | instskip(SKIP_3) | instid1(VALU_DEP_3)
	v_and_or_b32 v1, 0x8000, v14, v1
	v_lshlrev_b32_e32 v14, v20, v16
	v_cmp_eq_u32_e64 s0, 3, v19
	v_lshrrev_b32_e32 v19, 16, v3
	v_cmp_ne_u32_e64 s1, v14, v24
	s_delay_alu instid0(VALU_DEP_3)
	s_or_b32 vcc_lo, s0, vcc_lo
	v_and_or_b32 v8, 0x1ff, v9, v8
	s_wait_alu 0xfffe
	v_add_co_ci_u32_e32 v17, vcc_lo, 0, v17, vcc_lo
	v_cndmask_b32_e64 v14, 0, 1, s1
	v_cmp_ne_u32_e32 vcc_lo, 0, v13
	v_mul_f64_e32 v[11:12], s[8:9], v[11:12]
	v_lshrrev_b32_e32 v21, 8, v9
	v_bfe_u32 v22, v9, 20, 11
	v_or_b32_e32 v14, v16, v14
	v_lshl_or_b32 v16, v18, 12, v4
	s_wait_alu 0xfffd
	v_cndmask_b32_e64 v13, 0, 1, vcc_lo
	v_cmp_gt_i32_e32 vcc_lo, 1, v18
	v_lshrrev_b32_e32 v9, 16, v9
	s_delay_alu instid0(VALU_DEP_3)
	v_lshl_or_b32 v20, v13, 9, 0x7c00
	s_wait_alu 0xfffd
	v_cndmask_b32_e32 v16, v16, v14, vcc_lo
	v_mul_f16_e32 v14, v85, v19
	v_cmp_gt_i32_e32 vcc_lo, 31, v23
	v_cmp_eq_u32_e64 s1, 0x40f, v23
	s_delay_alu instid0(VALU_DEP_4) | instskip(NEXT) | instid1(VALU_DEP_4)
	v_and_b32_e32 v13, 7, v16
	v_fmac_f16_e32 v14, v77, v3
	s_wait_alu 0xfffd
	v_cndmask_b32_e32 v17, 0x7c00, v17, vcc_lo
	v_cmp_ne_u32_e32 vcc_lo, 0, v8
	v_lshrrev_b32_e32 v16, 2, v16
	v_cmp_eq_u32_e64 s0, 3, v13
	v_cvt_f32_f16_e32 v14, v14
	s_wait_alu 0xf1ff
	v_cndmask_b32_e64 v17, v17, v20, s1
	s_wait_alu 0xfffd
	v_cndmask_b32_e64 v8, 0, 1, vcc_lo
	v_cmp_lt_i32_e32 vcc_lo, 5, v13
	v_mul_f16_e32 v3, v85, v3
	v_cvt_f64_f32_e32 v[13:14], v14
	v_and_or_b32 v17, 0x8000, v10, v17
	v_and_or_b32 v8, 0xffe, v21, v8
	v_sub_nc_u32_e32 v21, 0x3f1, v22
	s_or_b32 vcc_lo, s0, vcc_lo
	v_fma_f16 v3, v77, v19, -v3
	s_wait_alu 0xfffe
	v_add_co_ci_u32_e32 v16, vcc_lo, 0, v16, vcc_lo
	v_or_b32_e32 v20, 0x1000, v8
	v_med3_i32 v21, v21, 0, 13
	v_cmp_ne_u32_e32 vcc_lo, 0, v4
	v_cvt_f32_f16_e32 v3, v3
	v_lshrrev_b32_e32 v19, 8, v12
	s_delay_alu instid0(VALU_DEP_4) | instskip(SKIP_3) | instid1(VALU_DEP_3)
	v_lshrrev_b32_e32 v23, v21, v20
	s_wait_alu 0xfffd
	v_cndmask_b32_e64 v4, 0, 1, vcc_lo
	v_cmp_gt_i32_e32 vcc_lo, 31, v18
	v_lshlrev_b32_e32 v10, v21, v23
	s_delay_alu instid0(VALU_DEP_3)
	v_lshl_or_b32 v4, v4, 9, 0x7c00
	s_wait_alu 0xfffd
	v_cndmask_b32_e32 v16, 0x7c00, v16, vcc_lo
	v_cmp_eq_u32_e32 vcc_lo, 0x40f, v18
	v_add_nc_u32_e32 v18, 0xfffffc10, v22
	s_wait_alu 0xfffd
	s_delay_alu instid0(VALU_DEP_3)
	v_cndmask_b32_e32 v16, v16, v4, vcc_lo
	v_and_or_b32 v4, 0x1ff, v12, v11
	v_cmp_ne_u32_e32 vcc_lo, v10, v20
	v_bfe_u32 v20, v12, 20, 11
	v_lshl_or_b32 v21, v18, 12, v8
	v_lshl_or_b32 v15, v1, 16, v15
	v_and_or_b32 v1, 0x8000, v5, v16
	s_wait_alu 0xfffd
	v_cndmask_b32_e64 v10, 0, 1, vcc_lo
	v_cmp_ne_u32_e32 vcc_lo, 0, v4
	v_cvt_f64_f32_e32 v[3:4], v3
	v_sub_nc_u32_e32 v22, 0x3f1, v20
	v_and_b32_e32 v16, 0xffff, v17
	v_or_b32_e32 v10, v23, v10
	s_wait_alu 0xfffd
	v_cndmask_b32_e64 v11, 0, 1, vcc_lo
	v_cmp_gt_i32_e32 vcc_lo, 1, v18
	v_add_nc_u32_e32 v20, 0xfffffc10, v20
	v_lshl_or_b32 v16, v1, 16, v16
	v_lshrrev_b32_e32 v12, 16, v12
	v_and_or_b32 v19, 0xffe, v19, v11
	s_wait_alu 0xfffd
	v_cndmask_b32_e32 v21, v21, v10, vcc_lo
	v_mul_f64_e32 v[10:11], s[8:9], v[13:14]
	v_med3_i32 v14, v22, 0, 13
	v_add_co_u32 v5, vcc_lo, v6, s2
	v_or_b32_e32 v13, 0x1000, v19
	v_and_b32_e32 v17, 7, v21
	s_wait_alu 0xfffd
	v_add_co_ci_u32_e32 v6, vcc_lo, s3, v7, vcc_lo
	v_lshrrev_b32_e32 v7, 2, v21
	v_lshrrev_b32_e32 v22, v14, v13
	v_cmp_lt_i32_e32 vcc_lo, 5, v17
	v_cmp_eq_u32_e64 s0, 3, v17
	v_lshrrev_b32_e32 v17, 16, v0
	s_delay_alu instid0(VALU_DEP_4) | instskip(SKIP_1) | instid1(VALU_DEP_4)
	v_lshlrev_b32_e32 v1, v14, v22
	v_lshl_or_b32 v14, v20, 12, v19
	s_or_b32 vcc_lo, s0, vcc_lo
	s_wait_alu 0xfffe
	v_add_co_ci_u32_e32 v7, vcc_lo, 0, v7, vcc_lo
	v_cmp_ne_u32_e64 s1, v1, v13
	v_mul_f16_e32 v13, v82, v17
	v_cmp_ne_u32_e32 vcc_lo, 0, v8
	s_wait_alu 0xf1ff
	s_delay_alu instid0(VALU_DEP_3) | instskip(NEXT) | instid1(VALU_DEP_3)
	v_cndmask_b32_e64 v1, 0, 1, s1
	v_fmac_f16_e32 v13, v76, v0
	v_mul_f64_e32 v[3:4], s[8:9], v[3:4]
	s_wait_alu 0xfffd
	v_cndmask_b32_e64 v8, 0, 1, vcc_lo
	v_cmp_gt_i32_e32 vcc_lo, 1, v20
	v_or_b32_e32 v1, v22, v1
	v_cvt_f32_f16_e32 v13, v13
	s_delay_alu instid0(VALU_DEP_4) | instskip(SKIP_1) | instid1(VALU_DEP_3)
	v_lshl_or_b32 v22, v8, 9, 0x7c00
	s_wait_alu 0xfffd
	v_cndmask_b32_e32 v1, v14, v1, vcc_lo
	v_cmp_gt_i32_e32 vcc_lo, 31, v18
	v_and_or_b32 v10, 0x1ff, v11, v10
	s_delay_alu instid0(VALU_DEP_3)
	v_and_b32_e32 v23, 7, v1
	s_wait_alu 0xfffd
	v_cndmask_b32_e32 v21, 0x7c00, v7, vcc_lo
	v_cvt_f64_f32_e32 v[7:8], v13
	v_add_co_u32 v13, vcc_lo, v5, s4
	s_wait_alu 0xfffd
	v_add_co_ci_u32_e32 v14, vcc_lo, s5, v6, vcc_lo
	v_cmp_eq_u32_e32 vcc_lo, 0x40f, v18
	v_cmp_ne_u32_e64 s0, 0, v10
	v_lshrrev_b32_e32 v1, 2, v1
	global_store_b32 v[5:6], v15, off
	global_store_b32 v[13:14], v16, off
	s_wait_alu 0xfffd
	v_cndmask_b32_e32 v18, v21, v22, vcc_lo
	v_cmp_lt_i32_e32 vcc_lo, 5, v23
	s_wait_alu 0xf1ff
	v_cndmask_b32_e64 v10, 0, 1, s0
	v_cmp_eq_u32_e64 s0, 3, v23
	v_lshrrev_b32_e32 v21, 8, v11
	v_bfe_u32 v22, v11, 20, 11
	v_and_or_b32 v9, 0x8000, v9, v18
	v_lshrrev_b32_e32 v11, 16, v11
	s_or_b32 vcc_lo, s0, vcc_lo
	v_and_or_b32 v21, 0xffe, v21, v10
	s_wait_alu 0xfffe
	v_add_co_ci_u32_e32 v1, vcc_lo, 0, v1, vcc_lo
	v_cmp_ne_u32_e32 vcc_lo, 0, v19
	v_sub_nc_u32_e32 v10, 0x3f1, v22
	v_or_b32_e32 v23, 0x1000, v21
	v_and_or_b32 v3, 0x1ff, v4, v3
	v_lshrrev_b32_e32 v24, 8, v4
	s_wait_alu 0xfffd
	v_cndmask_b32_e64 v19, 0, 1, vcc_lo
	v_cmp_gt_i32_e32 vcc_lo, 31, v20
	v_med3_i32 v10, v10, 0, 13
	v_bfe_u32 v25, v4, 20, 11
	v_lshrrev_b32_e32 v4, 16, v4
	v_lshl_or_b32 v19, v19, 9, 0x7c00
	s_wait_alu 0xfffd
	v_cndmask_b32_e32 v1, 0x7c00, v1, vcc_lo
	v_cmp_eq_u32_e32 vcc_lo, 0x40f, v20
	v_lshrrev_b32_e32 v18, v10, v23
	v_mul_f16_e32 v20, v82, v0
	s_wait_alu 0xfffd
	v_cndmask_b32_e32 v19, v1, v19, vcc_lo
	v_cmp_ne_u32_e32 vcc_lo, 0, v3
	v_lshlrev_b32_e32 v10, v10, v18
	v_mul_f64_e32 v[0:1], s[8:9], v[7:8]
	v_fma_f16 v7, v76, v17, -v20
	v_add_nc_u32_e32 v17, 0xfffffc10, v22
	s_wait_alu 0xfffd
	v_cndmask_b32_e64 v3, 0, 1, vcc_lo
	v_cmp_ne_u32_e32 vcc_lo, v10, v23
	v_sub_nc_u32_e32 v10, 0x3f1, v25
	v_and_or_b32 v12, 0x8000, v12, v19
	v_cvt_f32_f16_e32 v7, v7
	v_and_or_b32 v3, 0xffe, v24, v3
	s_wait_alu 0xfffd
	v_cndmask_b32_e64 v8, 0, 1, vcc_lo
	v_med3_i32 v10, v10, 0, 13
	v_lshl_or_b32 v20, v17, 12, v21
	v_cmp_gt_i32_e32 vcc_lo, 1, v17
	v_or_b32_e32 v22, 0x1000, v3
	v_or_b32_e32 v18, v18, v8
	v_cvt_f64_f32_e32 v[7:8], v7
	v_cmp_eq_u32_e64 s1, 0x40f, v17
	s_delay_alu instid0(VALU_DEP_4)
	v_lshrrev_b32_e32 v19, v10, v22
	s_wait_alu 0xfffd
	v_cndmask_b32_e32 v18, v20, v18, vcc_lo
	v_add_co_u32 v5, vcc_lo, v13, s2
	v_add_nc_u32_e32 v13, 0xfffffc10, v25
	v_lshlrev_b32_e32 v10, v10, v19
	s_wait_alu 0xfffd
	v_add_co_ci_u32_e32 v6, vcc_lo, s3, v14, vcc_lo
	s_delay_alu instid0(VALU_DEP_3) | instskip(NEXT) | instid1(VALU_DEP_3)
	v_lshl_or_b32 v16, v13, 12, v3
	v_cmp_ne_u32_e64 s0, v10, v22
	s_wait_alu 0xf1ff
	s_delay_alu instid0(VALU_DEP_1) | instskip(NEXT) | instid1(VALU_DEP_1)
	v_cndmask_b32_e64 v10, 0, 1, s0
	v_or_b32_e32 v10, v19, v10
	v_and_b32_e32 v9, 0xffff, v9
	v_and_or_b32 v0, 0x1ff, v1, v0
	v_bfe_u32 v19, v1, 20, 11
	s_delay_alu instid0(VALU_DEP_3) | instskip(SKIP_2) | instid1(VALU_DEP_2)
	v_lshl_or_b32 v15, v12, 16, v9
	v_and_b32_e32 v9, 7, v18
	v_lshrrev_b32_e32 v12, 16, v2
	v_cmp_lt_i32_e32 vcc_lo, 5, v9
	v_cmp_eq_u32_e64 s0, 3, v9
	v_lshrrev_b32_e32 v9, 2, v18
	s_delay_alu instid0(VALU_DEP_4) | instskip(SKIP_1) | instid1(VALU_DEP_4)
	v_mul_f16_e32 v14, v80, v12
	v_mul_f64_e32 v[7:8], s[8:9], v[7:8]
	s_or_b32 vcc_lo, s0, vcc_lo
	s_wait_alu 0xfffe
	v_add_co_ci_u32_e32 v18, vcc_lo, 0, v9, vcc_lo
	v_fmac_f16_e32 v14, v75, v2
	v_cmp_gt_i32_e32 vcc_lo, 1, v13
	s_delay_alu instid0(VALU_DEP_2)
	v_cvt_f32_f16_e32 v9, v14
	s_wait_alu 0xfffd
	v_cndmask_b32_e32 v14, v16, v10, vcc_lo
	v_cmp_ne_u32_e32 vcc_lo, 0, v0
	v_lshrrev_b32_e32 v16, 8, v1
	v_cvt_f64_f32_e32 v[9:10], v9
	s_wait_alu 0xfffd
	v_cndmask_b32_e64 v0, 0, 1, vcc_lo
	v_cmp_ne_u32_e32 vcc_lo, 0, v21
	v_and_b32_e32 v21, 7, v14
	v_lshrrev_b32_e32 v14, 2, v14
	s_delay_alu instid0(VALU_DEP_4)
	v_and_or_b32 v0, 0xffe, v16, v0
	s_wait_alu 0xfffd
	v_cndmask_b32_e64 v20, 0, 1, vcc_lo
	v_cmp_gt_i32_e32 vcc_lo, 31, v17
	v_sub_nc_u32_e32 v16, 0x3f1, v19
	v_cmp_eq_u32_e64 s0, 3, v21
	v_or_b32_e32 v22, 0x1000, v0
	v_lshl_or_b32 v20, v20, 9, 0x7c00
	s_wait_alu 0xfffd
	v_cndmask_b32_e32 v18, 0x7c00, v18, vcc_lo
	v_cmp_lt_i32_e32 vcc_lo, 5, v21
	v_med3_i32 v16, v16, 0, 13
	s_delay_alu instid0(VALU_DEP_3) | instskip(SKIP_1) | instid1(VALU_DEP_2)
	v_cndmask_b32_e64 v17, v18, v20, s1
	s_or_b32 vcc_lo, s0, vcc_lo
	v_lshrrev_b32_e32 v18, v16, v22
	s_wait_alu 0xfffe
	v_add_co_ci_u32_e32 v14, vcc_lo, 0, v14, vcc_lo
	v_cmp_ne_u32_e32 vcc_lo, 0, v3
	v_and_or_b32 v11, 0x8000, v11, v17
	v_lshlrev_b32_e32 v16, v16, v18
	v_add_nc_u32_e32 v17, 0xfffffc10, v19
	v_and_or_b32 v7, 0x1ff, v8, v7
	s_wait_alu 0xfffd
	v_cndmask_b32_e64 v3, 0, 1, vcc_lo
	v_cmp_gt_i32_e32 vcc_lo, 31, v13
	v_and_b32_e32 v11, 0xffff, v11
	s_delay_alu instid0(VALU_DEP_3)
	v_lshl_or_b32 v3, v3, 9, 0x7c00
	s_wait_alu 0xfffd
	v_cndmask_b32_e32 v14, 0x7c00, v14, vcc_lo
	v_cmp_ne_u32_e32 vcc_lo, v16, v22
	s_wait_alu 0xfffd
	v_cndmask_b32_e64 v16, 0, 1, vcc_lo
	v_cmp_eq_u32_e32 vcc_lo, 0x40f, v13
	s_delay_alu instid0(VALU_DEP_2)
	v_or_b32_e32 v16, v18, v16
	s_wait_alu 0xfffd
	v_cndmask_b32_e32 v13, v14, v3, vcc_lo
	ds_load_b32 v14, v73 offset:3528
	v_mul_f16_e32 v18, v80, v2
	v_mul_f64_e32 v[2:3], s[8:9], v[9:10]
	v_lshl_or_b32 v9, v17, 12, v0
	v_cmp_gt_i32_e32 vcc_lo, 1, v17
	v_and_or_b32 v4, 0x8000, v4, v13
	v_fma_f16 v10, v75, v12, -v18
	v_bfe_u32 v18, v8, 20, 11
	s_wait_alu 0xfffd
	v_cndmask_b32_e32 v12, v9, v16, vcc_lo
	v_cmp_ne_u32_e32 vcc_lo, 0, v7
	v_cvt_f32_f16_e32 v9, v10
	v_lshrrev_b32_e32 v16, 8, v8
	v_lshl_or_b32 v4, v4, 16, v11
	v_and_b32_e32 v13, 7, v12
	s_wait_alu 0xfffd
	v_cndmask_b32_e64 v7, 0, 1, vcc_lo
	v_cvt_f64_f32_e32 v[9:10], v9
	v_lshrrev_b32_e32 v11, 2, v12
	v_cmp_lt_i32_e32 vcc_lo, 5, v13
	s_delay_alu instid0(VALU_DEP_4)
	v_and_or_b32 v7, 0xffe, v16, v7
	v_sub_nc_u32_e32 v16, 0x3f1, v18
	s_wait_dscnt 0x0
	v_lshrrev_b32_e32 v19, 16, v14
	v_cmp_eq_u32_e64 s0, 3, v13
	v_add_nc_u32_e32 v18, 0xfffffc10, v18
	v_or_b32_e32 v20, 0x1000, v7
	v_med3_i32 v16, v16, 0, 13
	v_mul_f16_e32 v21, v79, v19
	s_or_b32 vcc_lo, s0, vcc_lo
	s_wait_alu 0xfffe
	v_add_co_ci_u32_e32 v11, vcc_lo, 0, v11, vcc_lo
	v_lshrrev_b32_e32 v13, v16, v20
	v_fmac_f16_e32 v21, v74, v14
	v_cmp_ne_u32_e32 vcc_lo, 0, v0
	v_mul_f16_e32 v14, v79, v14
	s_delay_alu instid0(VALU_DEP_4) | instskip(NEXT) | instid1(VALU_DEP_4)
	v_lshlrev_b32_e32 v16, v16, v13
	v_cvt_f32_f16_e32 v12, v21
	s_wait_alu 0xfffd
	v_cndmask_b32_e64 v0, 0, 1, vcc_lo
	v_cmp_gt_i32_e32 vcc_lo, 31, v17
	v_and_or_b32 v2, 0x1ff, v3, v2
	v_fma_f16 v14, v74, v19, -v14
	v_lshl_or_b32 v19, v18, 12, v7
	v_lshl_or_b32 v0, v0, 9, 0x7c00
	s_wait_alu 0xfffd
	v_cndmask_b32_e32 v21, 0x7c00, v11, vcc_lo
	v_cvt_f64_f32_e32 v[11:12], v12
	v_cmp_ne_u32_e32 vcc_lo, v16, v20
	v_lshrrev_b32_e32 v20, 8, v3
	v_cvt_f32_f16_e32 v14, v14
	s_wait_alu 0xfffd
	v_cndmask_b32_e64 v16, 0, 1, vcc_lo
	v_cmp_ne_u32_e32 vcc_lo, 0, v2
	v_mul_f64_e32 v[9:10], s[8:9], v[9:10]
	s_delay_alu instid0(VALU_DEP_3)
	v_or_b32_e32 v13, v13, v16
	s_wait_alu 0xfffd
	v_cndmask_b32_e64 v2, 0, 1, vcc_lo
	v_bfe_u32 v16, v3, 20, 11
	v_cmp_gt_i32_e32 vcc_lo, 1, v18
	v_lshrrev_b32_e32 v3, 16, v3
	s_delay_alu instid0(VALU_DEP_4) | instskip(NEXT) | instid1(VALU_DEP_4)
	v_and_or_b32 v2, 0xffe, v20, v2
	v_sub_nc_u32_e32 v20, 0x3f1, v16
	s_wait_alu 0xfffd
	v_cndmask_b32_e32 v19, v19, v13, vcc_lo
	v_cmp_eq_u32_e32 vcc_lo, 0x40f, v17
	v_cvt_f64_f32_e32 v[13:14], v14
	v_or_b32_e32 v22, 0x1000, v2
	v_med3_i32 v20, v20, 0, 13
	v_and_b32_e32 v23, 7, v19
	s_wait_alu 0xfffd
	v_cndmask_b32_e32 v17, v21, v0, vcc_lo
	v_add_co_u32 v0, vcc_lo, v5, s2
	v_lshrrev_b32_e32 v24, v20, v22
	v_lshrrev_b32_e32 v21, 16, v1
	s_wait_alu 0xfffd
	v_add_co_ci_u32_e32 v1, vcc_lo, s3, v6, vcc_lo
	v_cmp_lt_i32_e32 vcc_lo, 5, v23
	v_cmp_eq_u32_e64 s0, 3, v23
	v_lshrrev_b32_e32 v19, 2, v19
	v_lshlrev_b32_e32 v20, v20, v24
	v_add_nc_u32_e32 v16, 0xfffffc10, v16
	v_and_or_b32 v17, 0x8000, v21, v17
	s_or_b32 vcc_lo, s0, vcc_lo
	v_mul_f64_e32 v[11:12], s[8:9], v[11:12]
	s_wait_alu 0xfffe
	v_add_co_ci_u32_e32 v19, vcc_lo, 0, v19, vcc_lo
	v_cmp_ne_u32_e64 s1, v20, v22
	v_cmp_ne_u32_e32 vcc_lo, 0, v7
	v_lshl_or_b32 v21, v16, 12, v2
	v_and_b32_e32 v17, 0xffff, v17
	v_and_or_b32 v9, 0x1ff, v10, v9
	s_wait_alu 0xf1ff
	v_cndmask_b32_e64 v20, 0, 1, s1
	s_wait_alu 0xfffd
	v_cndmask_b32_e64 v7, 0, 1, vcc_lo
	v_cmp_gt_i32_e32 vcc_lo, 31, v18
	v_lshrrev_b32_e32 v22, 8, v10
	v_or_b32_e32 v20, v24, v20
	s_delay_alu instid0(VALU_DEP_4)
	v_lshl_or_b32 v7, v7, 9, 0x7c00
	s_wait_alu 0xfffd
	v_cndmask_b32_e32 v19, 0x7c00, v19, vcc_lo
	v_cmp_gt_i32_e32 vcc_lo, 1, v16
	s_wait_alu 0xfffd
	v_cndmask_b32_e32 v20, v21, v20, vcc_lo
	v_cmp_eq_u32_e32 vcc_lo, 0x40f, v18
	s_wait_alu 0xfffd
	s_delay_alu instid0(VALU_DEP_2)
	v_dual_cndmask_b32 v18, v19, v7 :: v_dual_and_b32 v21, 7, v20
	v_lshrrev_b32_e32 v19, 16, v8
	v_cmp_ne_u32_e32 vcc_lo, 0, v9
	v_mul_f64_e32 v[7:8], s[8:9], v[13:14]
	v_bfe_u32 v13, v10, 20, 11
	v_cmp_eq_u32_e64 s0, 3, v21
	v_and_or_b32 v14, 0x8000, v19, v18
	s_wait_alu 0xfffd
	v_cndmask_b32_e64 v9, 0, 1, vcc_lo
	v_cmp_lt_i32_e32 vcc_lo, 5, v21
	v_sub_nc_u32_e32 v18, 0x3f1, v13
	v_add_nc_u32_e32 v13, 0xfffffc10, v13
	v_lshl_or_b32 v14, v14, 16, v17
	v_lshrrev_b32_e32 v17, 2, v20
	v_and_or_b32 v9, 0xffe, v22, v9
	s_or_b32 vcc_lo, s0, vcc_lo
	v_med3_i32 v18, v18, 0, 13
	v_and_or_b32 v11, 0x1ff, v12, v11
	s_wait_alu 0xfffe
	v_add_co_ci_u32_e32 v17, vcc_lo, 0, v17, vcc_lo
	v_or_b32_e32 v19, 0x1000, v9
	v_cmp_ne_u32_e32 vcc_lo, 0, v2
	v_lshrrev_b32_e32 v21, 8, v12
	v_bfe_u32 v22, v12, 20, 11
	v_lshrrev_b32_e32 v10, 16, v10
	v_lshrrev_b32_e32 v20, v18, v19
	s_wait_alu 0xfffd
	v_cndmask_b32_e64 v2, 0, 1, vcc_lo
	v_cmp_gt_i32_e32 vcc_lo, 31, v16
	v_lshrrev_b32_e32 v12, 16, v12
	v_lshlrev_b32_e32 v18, v18, v20
	s_delay_alu instid0(VALU_DEP_4)
	v_lshl_or_b32 v2, v2, 9, 0x7c00
	s_wait_alu 0xfffd
	v_cndmask_b32_e32 v17, 0x7c00, v17, vcc_lo
	v_cmp_ne_u32_e32 vcc_lo, 0, v11
	s_wait_alu 0xfffd
	v_cndmask_b32_e64 v11, 0, 1, vcc_lo
	v_cmp_ne_u32_e32 vcc_lo, v18, v19
	v_sub_nc_u32_e32 v19, 0x3f1, v22
	v_and_or_b32 v7, 0x1ff, v8, v7
	s_delay_alu instid0(VALU_DEP_4)
	v_and_or_b32 v11, 0xffe, v21, v11
	s_wait_alu 0xfffd
	v_cndmask_b32_e64 v18, 0, 1, vcc_lo
	v_cmp_eq_u32_e32 vcc_lo, 0x40f, v16
	v_med3_i32 v19, v19, 0, 13
	v_bfe_u32 v21, v8, 20, 11
	s_delay_alu instid0(VALU_DEP_4)
	v_or_b32_e32 v16, v20, v18
	s_wait_alu 0xfffd
	v_cndmask_b32_e32 v2, v17, v2, vcc_lo
	v_lshl_or_b32 v17, v13, 12, v9
	v_or_b32_e32 v18, 0x1000, v11
	v_cmp_gt_i32_e32 vcc_lo, 1, v13
	v_lshrrev_b32_e32 v20, 8, v8
	v_and_or_b32 v2, 0x8000, v3, v2
	v_lshrrev_b32_e32 v8, 16, v8
	s_wait_alu 0xfffd
	v_cndmask_b32_e32 v16, v17, v16, vcc_lo
	v_lshrrev_b32_e32 v17, v19, v18
	v_cmp_ne_u32_e32 vcc_lo, 0, v7
	s_delay_alu instid0(VALU_DEP_3) | instskip(NEXT) | instid1(VALU_DEP_3)
	v_and_b32_e32 v23, 7, v16
	v_lshlrev_b32_e32 v19, v19, v17
	s_wait_alu 0xfffd
	v_cndmask_b32_e64 v7, 0, 1, vcc_lo
	v_lshrrev_b32_e32 v16, 2, v16
	v_cmp_lt_i32_e32 vcc_lo, 5, v23
	v_cmp_ne_u32_e64 s0, v19, v18
	s_delay_alu instid0(VALU_DEP_4)
	v_and_or_b32 v3, 0xffe, v20, v7
	v_sub_nc_u32_e32 v7, 0x3f1, v21
	v_add_nc_u32_e32 v20, 0xfffffc10, v22
	s_wait_alu 0xf1ff
	v_cndmask_b32_e64 v18, 0, 1, s0
	v_cmp_eq_u32_e64 s0, 3, v23
	v_or_b32_e32 v19, 0x1000, v3
	v_med3_i32 v7, v7, 0, 13
	v_lshl_or_b32 v22, v20, 12, v11
	v_or_b32_e32 v17, v17, v18
	s_or_b32 vcc_lo, s0, vcc_lo
	s_wait_alu 0xfffe
	v_add_co_ci_u32_e32 v16, vcc_lo, 0, v16, vcc_lo
	v_lshrrev_b32_e32 v18, v7, v19
	v_cmp_gt_i32_e32 vcc_lo, 1, v20
	s_delay_alu instid0(VALU_DEP_2)
	v_lshlrev_b32_e32 v7, v7, v18
	s_wait_alu 0xfffd
	v_cndmask_b32_e32 v17, v22, v17, vcc_lo
	v_cmp_ne_u32_e32 vcc_lo, 0, v9
	s_wait_alu 0xfffd
	v_cndmask_b32_e64 v9, 0, 1, vcc_lo
	v_cmp_ne_u32_e32 vcc_lo, v7, v19
	v_add_nc_u32_e32 v19, 0xfffffc10, v21
	v_and_b32_e32 v21, 7, v17
	s_delay_alu instid0(VALU_DEP_4)
	v_lshl_or_b32 v9, v9, 9, 0x7c00
	s_wait_alu 0xfffd
	v_cndmask_b32_e64 v7, 0, 1, vcc_lo
	v_cmp_gt_i32_e32 vcc_lo, 31, v13
	v_cmp_gt_i32_e64 s1, 1, v19
	v_cmp_eq_u32_e64 s0, 3, v21
	s_delay_alu instid0(VALU_DEP_4)
	v_or_b32_e32 v7, v18, v7
	s_wait_alu 0xfffd
	v_cndmask_b32_e32 v16, 0x7c00, v16, vcc_lo
	v_lshl_or_b32 v18, v19, 12, v3
	v_cmp_lt_i32_e32 vcc_lo, 5, v21
	s_wait_alu 0xf1ff
	s_delay_alu instid0(VALU_DEP_2) | instskip(SKIP_3) | instid1(VALU_DEP_2)
	v_cndmask_b32_e64 v7, v18, v7, s1
	v_cmp_eq_u32_e64 s1, 0x40f, v13
	v_lshrrev_b32_e32 v13, 2, v17
	s_or_b32 vcc_lo, s0, vcc_lo
	v_cndmask_b32_e64 v9, v16, v9, s1
	s_wait_alu 0xfffe
	s_delay_alu instid0(VALU_DEP_2)
	v_add_co_ci_u32_e32 v13, vcc_lo, 0, v13, vcc_lo
	v_and_b32_e32 v16, 7, v7
	v_cmp_ne_u32_e32 vcc_lo, 0, v11
	v_lshrrev_b32_e32 v7, 2, v7
	v_cmp_gt_i32_e64 s1, 31, v20
	v_and_or_b32 v9, 0x8000, v10, v9
	v_cmp_eq_u32_e64 s0, 3, v16
	s_wait_alu 0xfffd
	v_cndmask_b32_e64 v11, 0, 1, vcc_lo
	v_cmp_lt_i32_e32 vcc_lo, 5, v16
	s_wait_alu 0xf1ff
	v_cndmask_b32_e64 v13, 0x7c00, v13, s1
	v_and_b32_e32 v10, 0xffff, v2
	v_lshl_or_b32 v11, v11, 9, 0x7c00
	s_or_b32 vcc_lo, s0, vcc_lo
	s_wait_alu 0xfffe
	v_add_co_ci_u32_e32 v7, vcc_lo, 0, v7, vcc_lo
	v_cmp_ne_u32_e32 vcc_lo, 0, v3
	s_wait_alu 0xfffd
	v_cndmask_b32_e64 v3, 0, 1, vcc_lo
	v_cmp_eq_u32_e32 vcc_lo, 0x40f, v20
	s_delay_alu instid0(VALU_DEP_2) | instskip(SKIP_3) | instid1(VALU_DEP_2)
	v_lshl_or_b32 v3, v3, 9, 0x7c00
	s_wait_alu 0xfffd
	v_cndmask_b32_e32 v11, v13, v11, vcc_lo
	v_cmp_gt_i32_e32 vcc_lo, 31, v19
	v_and_or_b32 v11, 0x8000, v12, v11
	s_wait_alu 0xfffd
	v_cndmask_b32_e32 v7, 0x7c00, v7, vcc_lo
	v_cmp_eq_u32_e32 vcc_lo, 0x40f, v19
	v_lshl_or_b32 v12, v9, 16, v10
	v_and_b32_e32 v10, 0xffff, v11
	s_wait_alu 0xfffd
	v_cndmask_b32_e32 v7, v7, v3, vcc_lo
	v_add_co_u32 v2, vcc_lo, v0, s4
	s_wait_alu 0xfffd
	v_add_co_ci_u32_e32 v3, vcc_lo, s5, v1, vcc_lo
	s_delay_alu instid0(VALU_DEP_3) | instskip(NEXT) | instid1(VALU_DEP_3)
	v_and_or_b32 v9, 0x8000, v8, v7
	v_add_co_u32 v7, vcc_lo, v2, s2
	s_wait_alu 0xfffd
	s_delay_alu instid0(VALU_DEP_3) | instskip(NEXT) | instid1(VALU_DEP_3)
	v_add_co_ci_u32_e32 v8, vcc_lo, s3, v3, vcc_lo
	v_lshl_or_b32 v11, v9, 16, v10
	s_delay_alu instid0(VALU_DEP_3) | instskip(SKIP_1) | instid1(VALU_DEP_3)
	v_add_co_u32 v9, vcc_lo, v7, s2
	s_wait_alu 0xfffd
	v_add_co_ci_u32_e32 v10, vcc_lo, s3, v8, vcc_lo
	global_store_b32 v[5:6], v15, off
	global_store_b32 v[0:1], v4, off
	;; [unrolled: 1-line block ×5, first 2 shown]
.LBB0_10:
	s_nop 0
	s_sendmsg sendmsg(MSG_DEALLOC_VGPRS)
	s_endpgm
	.section	.rodata,"a",@progbits
	.p2align	6, 0x0
	.amdhsa_kernel bluestein_single_fwd_len945_dim1_half_op_CI_CI
		.amdhsa_group_segment_fixed_size 3780
		.amdhsa_private_segment_fixed_size 0
		.amdhsa_kernarg_size 104
		.amdhsa_user_sgpr_count 2
		.amdhsa_user_sgpr_dispatch_ptr 0
		.amdhsa_user_sgpr_queue_ptr 0
		.amdhsa_user_sgpr_kernarg_segment_ptr 1
		.amdhsa_user_sgpr_dispatch_id 0
		.amdhsa_user_sgpr_private_segment_size 0
		.amdhsa_wavefront_size32 1
		.amdhsa_uses_dynamic_stack 0
		.amdhsa_enable_private_segment 0
		.amdhsa_system_sgpr_workgroup_id_x 1
		.amdhsa_system_sgpr_workgroup_id_y 0
		.amdhsa_system_sgpr_workgroup_id_z 0
		.amdhsa_system_sgpr_workgroup_info 0
		.amdhsa_system_vgpr_workitem_id 0
		.amdhsa_next_free_vgpr 231
		.amdhsa_next_free_sgpr 20
		.amdhsa_reserve_vcc 1
		.amdhsa_float_round_mode_32 0
		.amdhsa_float_round_mode_16_64 0
		.amdhsa_float_denorm_mode_32 3
		.amdhsa_float_denorm_mode_16_64 3
		.amdhsa_fp16_overflow 0
		.amdhsa_workgroup_processor_mode 1
		.amdhsa_memory_ordered 1
		.amdhsa_forward_progress 0
		.amdhsa_round_robin_scheduling 0
		.amdhsa_exception_fp_ieee_invalid_op 0
		.amdhsa_exception_fp_denorm_src 0
		.amdhsa_exception_fp_ieee_div_zero 0
		.amdhsa_exception_fp_ieee_overflow 0
		.amdhsa_exception_fp_ieee_underflow 0
		.amdhsa_exception_fp_ieee_inexact 0
		.amdhsa_exception_int_div_zero 0
	.end_amdhsa_kernel
	.text
.Lfunc_end0:
	.size	bluestein_single_fwd_len945_dim1_half_op_CI_CI, .Lfunc_end0-bluestein_single_fwd_len945_dim1_half_op_CI_CI
                                        ; -- End function
	.section	.AMDGPU.csdata,"",@progbits
; Kernel info:
; codeLenInByte = 29764
; NumSgprs: 22
; NumVgprs: 231
; ScratchSize: 0
; MemoryBound: 0
; FloatMode: 240
; IeeeMode: 1
; LDSByteSize: 3780 bytes/workgroup (compile time only)
; SGPRBlocks: 2
; VGPRBlocks: 28
; NumSGPRsForWavesPerEU: 22
; NumVGPRsForWavesPerEU: 231
; Occupancy: 6
; WaveLimiterHint : 1
; COMPUTE_PGM_RSRC2:SCRATCH_EN: 0
; COMPUTE_PGM_RSRC2:USER_SGPR: 2
; COMPUTE_PGM_RSRC2:TRAP_HANDLER: 0
; COMPUTE_PGM_RSRC2:TGID_X_EN: 1
; COMPUTE_PGM_RSRC2:TGID_Y_EN: 0
; COMPUTE_PGM_RSRC2:TGID_Z_EN: 0
; COMPUTE_PGM_RSRC2:TIDIG_COMP_CNT: 0
	.text
	.p2alignl 7, 3214868480
	.fill 96, 4, 3214868480
	.type	__hip_cuid_306670eabdf353a8,@object ; @__hip_cuid_306670eabdf353a8
	.section	.bss,"aw",@nobits
	.globl	__hip_cuid_306670eabdf353a8
__hip_cuid_306670eabdf353a8:
	.byte	0                               ; 0x0
	.size	__hip_cuid_306670eabdf353a8, 1

	.ident	"AMD clang version 19.0.0git (https://github.com/RadeonOpenCompute/llvm-project roc-6.4.0 25133 c7fe45cf4b819c5991fe208aaa96edf142730f1d)"
	.section	".note.GNU-stack","",@progbits
	.addrsig
	.addrsig_sym __hip_cuid_306670eabdf353a8
	.amdgpu_metadata
---
amdhsa.kernels:
  - .args:
      - .actual_access:  read_only
        .address_space:  global
        .offset:         0
        .size:           8
        .value_kind:     global_buffer
      - .actual_access:  read_only
        .address_space:  global
        .offset:         8
        .size:           8
        .value_kind:     global_buffer
      - .actual_access:  read_only
        .address_space:  global
        .offset:         16
        .size:           8
        .value_kind:     global_buffer
      - .actual_access:  read_only
        .address_space:  global
        .offset:         24
        .size:           8
        .value_kind:     global_buffer
      - .actual_access:  read_only
        .address_space:  global
        .offset:         32
        .size:           8
        .value_kind:     global_buffer
      - .offset:         40
        .size:           8
        .value_kind:     by_value
      - .address_space:  global
        .offset:         48
        .size:           8
        .value_kind:     global_buffer
      - .address_space:  global
        .offset:         56
        .size:           8
        .value_kind:     global_buffer
      - .address_space:  global
        .offset:         64
        .size:           8
        .value_kind:     global_buffer
      - .address_space:  global
        .offset:         72
        .size:           8
        .value_kind:     global_buffer
      - .offset:         80
        .size:           4
        .value_kind:     by_value
      - .address_space:  global
        .offset:         88
        .size:           8
        .value_kind:     global_buffer
      - .address_space:  global
        .offset:         96
        .size:           8
        .value_kind:     global_buffer
    .group_segment_fixed_size: 3780
    .kernarg_segment_align: 8
    .kernarg_segment_size: 104
    .language:       OpenCL C
    .language_version:
      - 2
      - 0
    .max_flat_workgroup_size: 63
    .name:           bluestein_single_fwd_len945_dim1_half_op_CI_CI
    .private_segment_fixed_size: 0
    .sgpr_count:     22
    .sgpr_spill_count: 0
    .symbol:         bluestein_single_fwd_len945_dim1_half_op_CI_CI.kd
    .uniform_work_group_size: 1
    .uses_dynamic_stack: false
    .vgpr_count:     231
    .vgpr_spill_count: 0
    .wavefront_size: 32
    .workgroup_processor_mode: 1
amdhsa.target:   amdgcn-amd-amdhsa--gfx1201
amdhsa.version:
  - 1
  - 2
...

	.end_amdgpu_metadata
